;; amdgpu-corpus repo=ROCm/rocFFT kind=compiled arch=gfx1201 opt=O3
	.text
	.amdgcn_target "amdgcn-amd-amdhsa--gfx1201"
	.amdhsa_code_object_version 6
	.protected	fft_rtc_back_len2430_factors_10_3_3_3_3_3_wgs_81_tpt_81_halfLds_half_op_CI_CI_sbrr_dirReg ; -- Begin function fft_rtc_back_len2430_factors_10_3_3_3_3_3_wgs_81_tpt_81_halfLds_half_op_CI_CI_sbrr_dirReg
	.globl	fft_rtc_back_len2430_factors_10_3_3_3_3_3_wgs_81_tpt_81_halfLds_half_op_CI_CI_sbrr_dirReg
	.p2align	8
	.type	fft_rtc_back_len2430_factors_10_3_3_3_3_3_wgs_81_tpt_81_halfLds_half_op_CI_CI_sbrr_dirReg,@function
fft_rtc_back_len2430_factors_10_3_3_3_3_3_wgs_81_tpt_81_halfLds_half_op_CI_CI_sbrr_dirReg: ; @fft_rtc_back_len2430_factors_10_3_3_3_3_3_wgs_81_tpt_81_halfLds_half_op_CI_CI_sbrr_dirReg
; %bb.0:
	s_clause 0x2
	s_load_b128 s[12:15], s[0:1], 0x18
	s_load_b128 s[8:11], s[0:1], 0x0
	;; [unrolled: 1-line block ×3, first 2 shown]
	v_mul_u32_u24_e32 v1, 0x32a, v0
	v_mov_b32_e32 v7, 0
	v_mov_b32_e32 v5, 0
	;; [unrolled: 1-line block ×3, first 2 shown]
	s_wait_kmcnt 0x0
	s_load_b64 s[18:19], s[12:13], 0x0
	s_load_b64 s[16:17], s[14:15], 0x0
	v_lshrrev_b32_e32 v1, 16, v1
	v_cmp_lt_u64_e64 s2, s[10:11], 2
	s_delay_alu instid0(VALU_DEP_2) | instskip(NEXT) | instid1(VALU_DEP_2)
	v_dual_mov_b32 v10, v7 :: v_dual_add_nc_u32 v9, ttmp9, v1
	s_and_b32 vcc_lo, exec_lo, s2
	s_cbranch_vccnz .LBB0_8
; %bb.1:
	s_load_b64 s[2:3], s[0:1], 0x10
	v_mov_b32_e32 v5, 0
	v_mov_b32_e32 v6, 0
	s_delay_alu instid0(VALU_DEP_2)
	v_mov_b32_e32 v1, v5
	s_add_nc_u64 s[20:21], s[14:15], 8
	s_add_nc_u64 s[22:23], s[12:13], 8
	s_mov_b64 s[24:25], 1
	v_mov_b32_e32 v2, v6
	s_wait_kmcnt 0x0
	s_add_nc_u64 s[26:27], s[2:3], 8
	s_mov_b32 s3, 0
.LBB0_2:                                ; =>This Inner Loop Header: Depth=1
	s_load_b64 s[28:29], s[26:27], 0x0
                                        ; implicit-def: $vgpr3_vgpr4
	s_mov_b32 s2, exec_lo
	s_wait_kmcnt 0x0
	v_or_b32_e32 v8, s29, v10
	s_delay_alu instid0(VALU_DEP_1)
	v_cmpx_ne_u64_e32 0, v[7:8]
	s_wait_alu 0xfffe
	s_xor_b32 s30, exec_lo, s2
	s_cbranch_execz .LBB0_4
; %bb.3:                                ;   in Loop: Header=BB0_2 Depth=1
	s_cvt_f32_u32 s2, s28
	s_cvt_f32_u32 s31, s29
	s_sub_nc_u64 s[36:37], 0, s[28:29]
	s_wait_alu 0xfffe
	s_delay_alu instid0(SALU_CYCLE_1) | instskip(SKIP_1) | instid1(SALU_CYCLE_2)
	s_fmamk_f32 s2, s31, 0x4f800000, s2
	s_wait_alu 0xfffe
	v_s_rcp_f32 s2, s2
	s_delay_alu instid0(TRANS32_DEP_1) | instskip(SKIP_1) | instid1(SALU_CYCLE_2)
	s_mul_f32 s2, s2, 0x5f7ffffc
	s_wait_alu 0xfffe
	s_mul_f32 s31, s2, 0x2f800000
	s_wait_alu 0xfffe
	s_delay_alu instid0(SALU_CYCLE_2) | instskip(SKIP_1) | instid1(SALU_CYCLE_2)
	s_trunc_f32 s31, s31
	s_wait_alu 0xfffe
	s_fmamk_f32 s2, s31, 0xcf800000, s2
	s_cvt_u32_f32 s35, s31
	s_wait_alu 0xfffe
	s_delay_alu instid0(SALU_CYCLE_1) | instskip(SKIP_1) | instid1(SALU_CYCLE_2)
	s_cvt_u32_f32 s34, s2
	s_wait_alu 0xfffe
	s_mul_u64 s[38:39], s[36:37], s[34:35]
	s_wait_alu 0xfffe
	s_mul_hi_u32 s41, s34, s39
	s_mul_i32 s40, s34, s39
	s_mul_hi_u32 s2, s34, s38
	s_mul_i32 s33, s35, s38
	s_wait_alu 0xfffe
	s_add_nc_u64 s[40:41], s[2:3], s[40:41]
	s_mul_hi_u32 s31, s35, s38
	s_mul_hi_u32 s42, s35, s39
	s_add_co_u32 s2, s40, s33
	s_wait_alu 0xfffe
	s_add_co_ci_u32 s2, s41, s31
	s_mul_i32 s38, s35, s39
	s_add_co_ci_u32 s39, s42, 0
	s_wait_alu 0xfffe
	s_add_nc_u64 s[38:39], s[2:3], s[38:39]
	s_wait_alu 0xfffe
	v_add_co_u32 v3, s2, s34, s38
	s_delay_alu instid0(VALU_DEP_1) | instskip(SKIP_1) | instid1(VALU_DEP_1)
	s_cmp_lg_u32 s2, 0
	s_add_co_ci_u32 s35, s35, s39
	v_readfirstlane_b32 s34, v3
	s_wait_alu 0xfffe
	s_delay_alu instid0(VALU_DEP_1)
	s_mul_u64 s[36:37], s[36:37], s[34:35]
	s_wait_alu 0xfffe
	s_mul_hi_u32 s39, s34, s37
	s_mul_i32 s38, s34, s37
	s_mul_hi_u32 s2, s34, s36
	s_mul_i32 s33, s35, s36
	s_wait_alu 0xfffe
	s_add_nc_u64 s[38:39], s[2:3], s[38:39]
	s_mul_hi_u32 s31, s35, s36
	s_mul_hi_u32 s34, s35, s37
	s_wait_alu 0xfffe
	s_add_co_u32 s2, s38, s33
	s_add_co_ci_u32 s2, s39, s31
	s_mul_i32 s36, s35, s37
	s_add_co_ci_u32 s37, s34, 0
	s_wait_alu 0xfffe
	s_add_nc_u64 s[36:37], s[2:3], s[36:37]
	s_wait_alu 0xfffe
	v_add_co_u32 v8, s2, v3, s36
	s_delay_alu instid0(VALU_DEP_1) | instskip(SKIP_1) | instid1(VALU_DEP_1)
	s_cmp_lg_u32 s2, 0
	s_add_co_ci_u32 s2, s35, s37
	v_mul_hi_u32 v15, v9, v8
	s_wait_alu 0xfffe
	v_mad_co_u64_u32 v[3:4], null, v9, s2, 0
	v_mad_co_u64_u32 v[11:12], null, v10, v8, 0
	;; [unrolled: 1-line block ×3, first 2 shown]
	s_delay_alu instid0(VALU_DEP_3) | instskip(SKIP_1) | instid1(VALU_DEP_4)
	v_add_co_u32 v3, vcc_lo, v15, v3
	s_wait_alu 0xfffd
	v_add_co_ci_u32_e32 v4, vcc_lo, 0, v4, vcc_lo
	s_delay_alu instid0(VALU_DEP_2) | instskip(SKIP_1) | instid1(VALU_DEP_2)
	v_add_co_u32 v3, vcc_lo, v3, v11
	s_wait_alu 0xfffd
	v_add_co_ci_u32_e32 v3, vcc_lo, v4, v12, vcc_lo
	s_wait_alu 0xfffd
	v_add_co_ci_u32_e32 v4, vcc_lo, 0, v14, vcc_lo
	s_delay_alu instid0(VALU_DEP_2) | instskip(SKIP_1) | instid1(VALU_DEP_2)
	v_add_co_u32 v8, vcc_lo, v3, v13
	s_wait_alu 0xfffd
	v_add_co_ci_u32_e32 v11, vcc_lo, 0, v4, vcc_lo
	s_delay_alu instid0(VALU_DEP_2) | instskip(SKIP_1) | instid1(VALU_DEP_3)
	v_mul_lo_u32 v12, s29, v8
	v_mad_co_u64_u32 v[3:4], null, s28, v8, 0
	v_mul_lo_u32 v13, s28, v11
	s_delay_alu instid0(VALU_DEP_2) | instskip(NEXT) | instid1(VALU_DEP_2)
	v_sub_co_u32 v3, vcc_lo, v9, v3
	v_add3_u32 v4, v4, v13, v12
	s_delay_alu instid0(VALU_DEP_1) | instskip(SKIP_1) | instid1(VALU_DEP_1)
	v_sub_nc_u32_e32 v12, v10, v4
	s_wait_alu 0xfffd
	v_subrev_co_ci_u32_e64 v12, s2, s29, v12, vcc_lo
	v_add_co_u32 v13, s2, v8, 2
	s_wait_alu 0xf1ff
	v_add_co_ci_u32_e64 v14, s2, 0, v11, s2
	v_sub_co_u32 v15, s2, v3, s28
	v_sub_co_ci_u32_e32 v4, vcc_lo, v10, v4, vcc_lo
	s_wait_alu 0xf1ff
	v_subrev_co_ci_u32_e64 v12, s2, 0, v12, s2
	s_delay_alu instid0(VALU_DEP_3) | instskip(NEXT) | instid1(VALU_DEP_3)
	v_cmp_le_u32_e32 vcc_lo, s28, v15
	v_cmp_eq_u32_e64 s2, s29, v4
	s_wait_alu 0xfffd
	v_cndmask_b32_e64 v15, 0, -1, vcc_lo
	v_cmp_le_u32_e32 vcc_lo, s29, v12
	s_wait_alu 0xfffd
	v_cndmask_b32_e64 v16, 0, -1, vcc_lo
	v_cmp_le_u32_e32 vcc_lo, s28, v3
	;; [unrolled: 3-line block ×3, first 2 shown]
	s_wait_alu 0xfffd
	v_cndmask_b32_e64 v17, 0, -1, vcc_lo
	v_cmp_eq_u32_e32 vcc_lo, s29, v12
	s_wait_alu 0xf1ff
	s_delay_alu instid0(VALU_DEP_2)
	v_cndmask_b32_e64 v3, v17, v3, s2
	s_wait_alu 0xfffd
	v_cndmask_b32_e32 v12, v16, v15, vcc_lo
	v_add_co_u32 v15, vcc_lo, v8, 1
	s_wait_alu 0xfffd
	v_add_co_ci_u32_e32 v16, vcc_lo, 0, v11, vcc_lo
	s_delay_alu instid0(VALU_DEP_3) | instskip(SKIP_1) | instid1(VALU_DEP_2)
	v_cmp_ne_u32_e32 vcc_lo, 0, v12
	s_wait_alu 0xfffd
	v_cndmask_b32_e32 v4, v16, v14, vcc_lo
	v_cndmask_b32_e32 v12, v15, v13, vcc_lo
	v_cmp_ne_u32_e32 vcc_lo, 0, v3
	s_wait_alu 0xfffd
	s_delay_alu instid0(VALU_DEP_3) | instskip(NEXT) | instid1(VALU_DEP_3)
	v_cndmask_b32_e32 v4, v11, v4, vcc_lo
	v_cndmask_b32_e32 v3, v8, v12, vcc_lo
.LBB0_4:                                ;   in Loop: Header=BB0_2 Depth=1
	s_wait_alu 0xfffe
	s_and_not1_saveexec_b32 s2, s30
	s_cbranch_execz .LBB0_6
; %bb.5:                                ;   in Loop: Header=BB0_2 Depth=1
	v_cvt_f32_u32_e32 v3, s28
	s_sub_co_i32 s30, 0, s28
	s_delay_alu instid0(VALU_DEP_1) | instskip(NEXT) | instid1(TRANS32_DEP_1)
	v_rcp_iflag_f32_e32 v3, v3
	v_mul_f32_e32 v3, 0x4f7ffffe, v3
	s_delay_alu instid0(VALU_DEP_1) | instskip(SKIP_1) | instid1(VALU_DEP_1)
	v_cvt_u32_f32_e32 v3, v3
	s_wait_alu 0xfffe
	v_mul_lo_u32 v4, s30, v3
	s_delay_alu instid0(VALU_DEP_1) | instskip(NEXT) | instid1(VALU_DEP_1)
	v_mul_hi_u32 v4, v3, v4
	v_add_nc_u32_e32 v3, v3, v4
	s_delay_alu instid0(VALU_DEP_1) | instskip(NEXT) | instid1(VALU_DEP_1)
	v_mul_hi_u32 v3, v9, v3
	v_mul_lo_u32 v4, v3, s28
	v_add_nc_u32_e32 v8, 1, v3
	s_delay_alu instid0(VALU_DEP_2) | instskip(NEXT) | instid1(VALU_DEP_1)
	v_sub_nc_u32_e32 v4, v9, v4
	v_subrev_nc_u32_e32 v11, s28, v4
	v_cmp_le_u32_e32 vcc_lo, s28, v4
	s_wait_alu 0xfffd
	s_delay_alu instid0(VALU_DEP_2) | instskip(NEXT) | instid1(VALU_DEP_1)
	v_dual_cndmask_b32 v4, v4, v11 :: v_dual_cndmask_b32 v3, v3, v8
	v_cmp_le_u32_e32 vcc_lo, s28, v4
	s_delay_alu instid0(VALU_DEP_2) | instskip(SKIP_2) | instid1(VALU_DEP_2)
	v_add_nc_u32_e32 v8, 1, v3
	v_mov_b32_e32 v4, v7
	s_wait_alu 0xfffd
	v_cndmask_b32_e32 v3, v3, v8, vcc_lo
.LBB0_6:                                ;   in Loop: Header=BB0_2 Depth=1
	s_wait_alu 0xfffe
	s_or_b32 exec_lo, exec_lo, s2
	v_mul_lo_u32 v8, v4, s28
	s_delay_alu instid0(VALU_DEP_2)
	v_mul_lo_u32 v13, v3, s29
	s_load_b64 s[30:31], s[22:23], 0x0
	v_mad_co_u64_u32 v[11:12], null, v3, s28, 0
	s_load_b64 s[28:29], s[20:21], 0x0
	s_add_nc_u64 s[24:25], s[24:25], 1
	s_add_nc_u64 s[20:21], s[20:21], 8
	s_wait_alu 0xfffe
	v_cmp_ge_u64_e64 s2, s[24:25], s[10:11]
	s_add_nc_u64 s[22:23], s[22:23], 8
	s_add_nc_u64 s[26:27], s[26:27], 8
	v_add3_u32 v8, v12, v13, v8
	v_sub_co_u32 v9, vcc_lo, v9, v11
	s_wait_alu 0xfffd
	s_delay_alu instid0(VALU_DEP_2) | instskip(SKIP_2) | instid1(VALU_DEP_1)
	v_sub_co_ci_u32_e32 v8, vcc_lo, v10, v8, vcc_lo
	s_and_b32 vcc_lo, exec_lo, s2
	s_wait_kmcnt 0x0
	v_mul_lo_u32 v10, s30, v8
	v_mul_lo_u32 v11, s31, v9
	v_mad_co_u64_u32 v[5:6], null, s30, v9, v[5:6]
	v_mul_lo_u32 v8, s28, v8
	v_mul_lo_u32 v12, s29, v9
	v_mad_co_u64_u32 v[1:2], null, s28, v9, v[1:2]
	s_delay_alu instid0(VALU_DEP_4) | instskip(NEXT) | instid1(VALU_DEP_2)
	v_add3_u32 v6, v11, v6, v10
	v_add3_u32 v2, v12, v2, v8
	s_wait_alu 0xfffe
	s_cbranch_vccnz .LBB0_9
; %bb.7:                                ;   in Loop: Header=BB0_2 Depth=1
	v_dual_mov_b32 v10, v4 :: v_dual_mov_b32 v9, v3
	s_branch .LBB0_2
.LBB0_8:
	v_dual_mov_b32 v1, v5 :: v_dual_mov_b32 v2, v6
	s_delay_alu instid0(VALU_DEP_2)
	v_dual_mov_b32 v3, v9 :: v_dual_mov_b32 v4, v10
.LBB0_9:
	s_load_b64 s[0:1], s[0:1], 0x28
	v_mul_hi_u32 v77, 0x3291620, v0
	s_lshl_b64 s[10:11], s[10:11], 3
                                        ; implicit-def: $vgpr31
                                        ; implicit-def: $vgpr34
                                        ; implicit-def: $vgpr37
                                        ; implicit-def: $vgpr32
                                        ; implicit-def: $vgpr35
                                        ; implicit-def: $vgpr39
                                        ; implicit-def: $vgpr33
                                        ; implicit-def: $vgpr36
                                        ; implicit-def: $vgpr40
                                        ; implicit-def: $vgpr38
	s_wait_kmcnt 0x0
	v_cmp_gt_u64_e32 vcc_lo, s[0:1], v[3:4]
	v_cmp_le_u64_e64 s0, s[0:1], v[3:4]
	s_delay_alu instid0(VALU_DEP_1)
	s_and_saveexec_b32 s1, s0
	s_wait_alu 0xfffe
	s_xor_b32 s0, exec_lo, s1
; %bb.10:
	v_mul_u32_u24_e32 v5, 0x51, v77
                                        ; implicit-def: $vgpr77
	s_delay_alu instid0(VALU_DEP_1) | instskip(NEXT) | instid1(VALU_DEP_1)
	v_sub_nc_u32_e32 v31, v0, v5
                                        ; implicit-def: $vgpr0
                                        ; implicit-def: $vgpr5_vgpr6
	v_add_nc_u32_e32 v34, 0x51, v31
	v_add_nc_u32_e32 v37, 0xa2, v31
	v_add_nc_u32_e32 v32, 0xf3, v31
	v_add_nc_u32_e32 v35, 0x144, v31
	v_add_nc_u32_e32 v39, 0x195, v31
	v_add_nc_u32_e32 v33, 0x1e6, v31
	v_add_nc_u32_e32 v36, 0x237, v31
	v_add_nc_u32_e32 v40, 0x288, v31
	v_add_nc_u32_e32 v38, 0x2d9, v31
; %bb.11:
	s_wait_alu 0xfffe
	s_or_saveexec_b32 s1, s0
	s_add_nc_u64 s[2:3], s[14:15], s[10:11]
                                        ; implicit-def: $vgpr13
                                        ; implicit-def: $vgpr17
                                        ; implicit-def: $vgpr28
                                        ; implicit-def: $vgpr30
                                        ; implicit-def: $vgpr16
                                        ; implicit-def: $vgpr15
                                        ; implicit-def: $vgpr29
                                        ; implicit-def: $vgpr25
                                        ; implicit-def: $vgpr19
                                        ; implicit-def: $vgpr18
                                        ; implicit-def: $vgpr41
                                        ; implicit-def: $vgpr26
                                        ; implicit-def: $vgpr20
                                        ; implicit-def: $vgpr9
                                        ; implicit-def: $vgpr42
                                        ; implicit-def: $vgpr23
                                        ; implicit-def: $vgpr12
                                        ; implicit-def: $vgpr8
                                        ; implicit-def: $vgpr10
                                        ; implicit-def: $vgpr7
                                        ; implicit-def: $vgpr56
                                        ; implicit-def: $vgpr49
                                        ; implicit-def: $vgpr68
                                        ; implicit-def: $vgpr65
                                        ; implicit-def: $vgpr57
                                        ; implicit-def: $vgpr50
                                        ; implicit-def: $vgpr71
                                        ; implicit-def: $vgpr64
                                        ; implicit-def: $vgpr62
                                        ; implicit-def: $vgpr21
                                        ; implicit-def: $vgpr72
                                        ; implicit-def: $vgpr43
                                        ; implicit-def: $vgpr63
                                        ; implicit-def: $vgpr22
                                        ; implicit-def: $vgpr73
                                        ; implicit-def: $vgpr46
                                        ; implicit-def: $vgpr51
                                        ; implicit-def: $vgpr14
                                        ; implicit-def: $vgpr48
                                        ; implicit-def: $vgpr11
                                        ; implicit-def: $vgpr60
                                        ; implicit-def: $vgpr55
                                        ; implicit-def: $vgpr69
                                        ; implicit-def: $vgpr58
                                        ; implicit-def: $vgpr61
                                        ; implicit-def: $vgpr44
                                        ; implicit-def: $vgpr70
                                        ; implicit-def: $vgpr52
                                        ; implicit-def: $vgpr66
                                        ; implicit-def: $vgpr45
                                        ; implicit-def: $vgpr75
                                        ; implicit-def: $vgpr53
                                        ; implicit-def: $vgpr67
                                        ; implicit-def: $vgpr47
                                        ; implicit-def: $vgpr76
                                        ; implicit-def: $vgpr54
                                        ; implicit-def: $vgpr59
                                        ; implicit-def: $vgpr27
                                        ; implicit-def: $vgpr74
                                        ; implicit-def: $vgpr24
	s_wait_alu 0xfffe
	s_xor_b32 exec_lo, exec_lo, s1
	s_cbranch_execz .LBB0_13
; %bb.12:
	v_mul_u32_u24_e32 v7, 0x51, v77
	s_add_nc_u64 s[10:11], s[12:13], s[10:11]
	v_lshlrev_b64_e32 v[5:6], 2, v[5:6]
	s_load_b64 s[10:11], s[10:11], 0x0
	s_delay_alu instid0(VALU_DEP_2) | instskip(NEXT) | instid1(VALU_DEP_1)
	v_sub_nc_u32_e32 v31, v0, v7
	v_mad_co_u64_u32 v[7:8], null, s18, v31, 0
	v_add_nc_u32_e32 v33, 0x1e6, v31
	v_add_nc_u32_e32 v38, 0x2d9, v31
	;; [unrolled: 1-line block ×6, first 2 shown]
	v_mov_b32_e32 v0, v8
	v_mad_co_u64_u32 v[11:12], null, s18, v33, 0
	v_add_nc_u32_e32 v34, 0x51, v31
	s_delay_alu instid0(VALU_DEP_4) | instskip(NEXT) | instid1(VALU_DEP_4)
	v_mad_co_u64_u32 v[28:29], null, s18, v30, 0
	v_mad_co_u64_u32 v[15:16], null, s19, v31, v[0:1]
	;; [unrolled: 1-line block ×3, first 2 shown]
	v_add_nc_u32_e32 v32, 0xf3, v31
	s_wait_kmcnt 0x0
	v_mul_lo_u32 v8, s11, v3
	v_mul_lo_u32 v18, s10, v4
	v_mad_co_u64_u32 v[13:14], null, s10, v3, 0
	v_mad_co_u64_u32 v[9:10], null, s18, v32, 0
	v_add_nc_u32_e32 v21, 0x3cc, v31
	v_add_nc_u32_e32 v35, 0x144, v31
	;; [unrolled: 1-line block ×3, first 2 shown]
	v_mad_co_u64_u32 v[39:40], null, s18, v34, 0
	v_add3_u32 v14, v14, v18, v8
	v_mov_b32_e32 v0, v10
	v_mov_b32_e32 v10, v12
	;; [unrolled: 1-line block ×3, first 2 shown]
	v_add_nc_u32_e32 v36, 0x237, v31
	v_lshlrev_b64_e32 v[12:13], 2, v[13:14]
	v_add_nc_u32_e32 v48, 0x46e, v31
	v_mad_co_u64_u32 v[14:15], null, s19, v33, v[10:11]
	v_mov_b32_e32 v15, v17
	v_mad_co_u64_u32 v[18:19], null, s19, v32, v[0:1]
	v_add_co_u32 v0, s0, s4, v12
	s_wait_alu 0xf1ff
	v_add_co_ci_u32_e64 v13, s0, s5, v13, s0
	v_lshlrev_b64_e32 v[7:8], 2, v[7:8]
	s_delay_alu instid0(VALU_DEP_3)
	v_add_co_u32 v0, s0, v0, v5
	v_mov_b32_e32 v10, v18
	v_mov_b32_e32 v12, v14
	s_wait_alu 0xf1ff
	v_add_co_ci_u32_e64 v5, s0, v13, v6, s0
	v_mad_co_u64_u32 v[13:14], null, s19, v38, v[15:16]
	v_mad_co_u64_u32 v[19:20], null, s18, v21, 0
	v_lshlrev_b64_e32 v[9:10], 2, v[9:10]
	v_add_co_u32 v6, s0, v0, v7
	s_wait_alu 0xf1ff
	v_add_co_ci_u32_e64 v7, s0, v5, v8, s0
	v_mov_b32_e32 v17, v13
	v_mad_co_u64_u32 v[13:14], null, s18, v22, 0
	v_add_co_u32 v8, s0, v0, v9
	s_wait_alu 0xf1ff
	v_add_co_ci_u32_e64 v9, s0, v5, v10, s0
	v_lshlrev_b64_e32 v[10:11], 2, v[11:12]
	v_mov_b32_e32 v12, v20
	v_lshlrev_b64_e32 v[15:16], 2, v[16:17]
	v_mad_co_u64_u32 v[17:18], null, s18, v24, 0
	v_add_nc_u32_e32 v37, 0xa2, v31
	s_delay_alu instid0(VALU_DEP_4) | instskip(SKIP_4) | instid1(VALU_DEP_3)
	v_mad_co_u64_u32 v[20:21], null, s19, v21, v[12:13]
	v_mov_b32_e32 v12, v14
	v_add_co_u32 v10, s0, v0, v10
	s_wait_alu 0xf1ff
	v_add_co_ci_u32_e64 v11, s0, v5, v11, s0
	v_mad_co_u64_u32 v[21:22], null, s19, v22, v[12:13]
	v_mov_b32_e32 v12, v18
	v_mad_co_u64_u32 v[22:23], null, s18, v26, 0
	v_lshlrev_b64_e32 v[19:20], 2, v[19:20]
	v_add_co_u32 v15, s0, v0, v15
	v_mov_b32_e32 v14, v21
	v_mad_co_u64_u32 v[24:25], null, s19, v24, v[12:13]
	v_mov_b32_e32 v12, v23
	s_wait_alu 0xf1ff
	v_add_co_ci_u32_e64 v16, s0, v5, v16, s0
	v_lshlrev_b64_e32 v[13:14], 2, v[13:14]
	v_add_co_u32 v19, s0, v0, v19
	v_mov_b32_e32 v18, v24
	s_wait_alu 0xf1ff
	v_add_co_ci_u32_e64 v20, s0, v5, v20, s0
	s_delay_alu instid0(VALU_DEP_4)
	v_mad_co_u64_u32 v[23:24], null, s19, v26, v[12:13]
	v_mad_co_u64_u32 v[25:26], null, s18, v27, 0
	v_add_co_u32 v12, s0, v0, v13
	s_wait_alu 0xf1ff
	v_add_co_ci_u32_e64 v13, s0, v5, v14, s0
	v_lshlrev_b64_e32 v[17:18], 2, v[17:18]
	v_lshlrev_b64_e32 v[21:22], 2, v[22:23]
	v_mov_b32_e32 v14, v26
	v_mad_co_u64_u32 v[56:57], null, s18, v48, 0
	s_delay_alu instid0(VALU_DEP_4) | instskip(NEXT) | instid1(VALU_DEP_3)
	v_add_co_u32 v17, s0, v0, v17
	v_mad_co_u64_u32 v[23:24], null, s19, v27, v[14:15]
	v_mov_b32_e32 v14, v29
	s_wait_alu 0xf1ff
	v_add_co_ci_u32_e64 v18, s0, v5, v18, s0
	v_add_co_u32 v21, s0, v0, v21
	s_wait_alu 0xf1ff
	v_add_co_ci_u32_e64 v22, s0, v5, v22, s0
	v_mov_b32_e32 v26, v23
	v_mad_co_u64_u32 v[23:24], null, s19, v30, v[14:15]
	s_clause 0x7
	global_load_b32 v24, v[6:7], off
	global_load_b32 v27, v[8:9], off
	;; [unrolled: 1-line block ×8, first 2 shown]
	v_mad_co_u64_u32 v[9:10], null, s18, v35, 0
	v_mov_b32_e32 v8, v40
	v_lshlrev_b64_e32 v[6:7], 2, v[25:26]
	v_mad_co_u64_u32 v[14:15], null, s18, v36, 0
	v_dual_mov_b32 v29, v23 :: v_dual_add_nc_u32 v30, 0x6f6, v31
	s_delay_alu instid0(VALU_DEP_4) | instskip(SKIP_1) | instid1(VALU_DEP_3)
	v_mad_co_u64_u32 v[11:12], null, s19, v34, v[8:9]
	v_mov_b32_e32 v8, v10
	v_lshlrev_b64_e32 v[12:13], 2, v[28:29]
	v_add_co_u32 v6, s0, v0, v6
	s_wait_alu 0xf1ff
	v_add_co_ci_u32_e64 v7, s0, v5, v7, s0
	v_mov_b32_e32 v40, v11
	v_mad_co_u64_u32 v[10:11], null, s19, v35, v[8:9]
	v_add_co_u32 v11, s0, v0, v12
	s_wait_alu 0xf1ff
	v_add_co_ci_u32_e64 v12, s0, v5, v13, s0
	v_dual_mov_b32 v8, v15 :: v_dual_add_nc_u32 v13, 0x32a, v31
	v_add_nc_u32_e32 v28, 0x41d, v31
	v_add_nc_u32_e32 v29, 0x510, v31
	v_lshlrev_b64_e32 v[16:17], 2, v[39:40]
	s_delay_alu instid0(VALU_DEP_4) | instskip(SKIP_4) | instid1(VALU_DEP_4)
	v_mad_co_u64_u32 v[18:19], null, s18, v13, 0
	v_mad_co_u64_u32 v[20:21], null, s19, v36, v[8:9]
	v_lshlrev_b64_e32 v[8:9], 2, v[9:10]
	v_mad_co_u64_u32 v[25:26], null, s18, v29, 0
	v_add_co_u32 v16, s0, v0, v16
	v_dual_mov_b32 v10, v19 :: v_dual_mov_b32 v15, v20
	v_mad_co_u64_u32 v[20:21], null, s18, v28, 0
	s_wait_alu 0xf1ff
	v_add_co_ci_u32_e64 v17, s0, v5, v17, s0
	s_delay_alu instid0(VALU_DEP_3)
	v_mad_co_u64_u32 v[22:23], null, s19, v13, v[10:11]
	v_lshlrev_b64_e32 v[13:14], 2, v[14:15]
	v_add_co_u32 v8, s0, v0, v8
	v_mov_b32_e32 v10, v21
	s_wait_alu 0xf1ff
	v_add_co_ci_u32_e64 v9, s0, v5, v9, s0
	v_mov_b32_e32 v19, v22
	v_add_nc_u32_e32 v15, 0x603, v31
	v_mad_co_u64_u32 v[21:22], null, s19, v28, v[10:11]
	v_mov_b32_e32 v10, v26
	v_add_co_u32 v22, s0, v0, v13
	s_wait_alu 0xf1ff
	v_add_co_ci_u32_e64 v23, s0, v5, v14, s0
	v_lshlrev_b64_e32 v[13:14], 2, v[18:19]
	v_mad_co_u64_u32 v[18:19], null, s19, v29, v[10:11]
	v_mad_co_u64_u32 v[28:29], null, s18, v15, 0
	s_delay_alu instid0(VALU_DEP_3) | instskip(SKIP_1) | instid1(VALU_DEP_4)
	v_add_co_u32 v39, s0, v0, v13
	s_wait_alu 0xf1ff
	v_add_co_ci_u32_e64 v40, s0, v5, v14, s0
	s_delay_alu instid0(VALU_DEP_4) | instskip(SKIP_3) | instid1(VALU_DEP_4)
	v_mov_b32_e32 v26, v18
	v_mad_co_u64_u32 v[18:19], null, s18, v30, 0
	v_lshlrev_b64_e32 v[13:14], 2, v[20:21]
	v_mov_b32_e32 v10, v29
	v_lshlrev_b64_e32 v[20:21], 2, v[25:26]
	s_delay_alu instid0(VALU_DEP_2)
	v_mad_co_u64_u32 v[25:26], null, s19, v15, v[10:11]
	v_mov_b32_e32 v10, v19
	v_add_co_u32 v41, s0, v0, v13
	s_wait_alu 0xf1ff
	v_add_co_ci_u32_e64 v42, s0, v5, v14, s0
	v_add_co_u32 v19, s0, v0, v20
	v_mad_co_u64_u32 v[13:14], null, s19, v30, v[10:11]
	s_wait_alu 0xf1ff
	v_add_co_ci_u32_e64 v20, s0, v5, v21, s0
	s_clause 0x7
	global_load_b32 v58, v[6:7], off
	global_load_b32 v55, v[11:12], off
	;; [unrolled: 1-line block ×8, first 2 shown]
	v_add_nc_u32_e32 v15, 0x7e9, v31
	v_dual_mov_b32 v29, v25 :: v_dual_add_nc_u32 v20, 0x8dc, v31
	v_mov_b32_e32 v19, v13
	v_add_nc_u32_e32 v39, 0x195, v31
	s_delay_alu instid0(VALU_DEP_4) | instskip(NEXT) | instid1(VALU_DEP_4)
	v_mad_co_u64_u32 v[25:26], null, s18, v15, 0
	v_lshlrev_b64_e32 v[7:8], 2, v[28:29]
	v_mad_co_u64_u32 v[12:13], null, s18, v20, 0
	v_add_nc_u32_e32 v40, 0x288, v31
	s_delay_alu instid0(VALU_DEP_4) | instskip(NEXT) | instid1(VALU_DEP_1)
	v_dual_mov_b32 v6, v26 :: v_dual_add_nc_u32 v23, 0x37b, v31
	v_mad_co_u64_u32 v[28:29], null, s18, v23, 0
	s_delay_alu instid0(VALU_DEP_2)
	v_mad_co_u64_u32 v[9:10], null, s19, v15, v[6:7]
	v_add_co_u32 v6, s0, v0, v7
	s_wait_alu 0xf1ff
	v_add_co_ci_u32_e64 v7, s0, v5, v8, s0
	v_mov_b32_e32 v8, v13
	v_lshlrev_b64_e32 v[15:16], 2, v[18:19]
	v_mov_b32_e32 v26, v9
	v_mad_co_u64_u32 v[9:10], null, s18, v37, 0
	v_mad_co_u64_u32 v[17:18], null, s18, v39, 0
	s_delay_alu instid0(VALU_DEP_3)
	v_lshlrev_b64_e32 v[25:26], 2, v[25:26]
	v_add_co_u32 v15, s0, v0, v15
	s_wait_alu 0xf1ff
	v_add_co_ci_u32_e64 v16, s0, v5, v16, s0
	v_mad_co_u64_u32 v[19:20], null, s19, v20, v[8:9]
	v_mov_b32_e32 v8, v10
	v_mov_b32_e32 v10, v18
	v_add_co_u32 v25, s0, v0, v25
	s_wait_alu 0xf1ff
	v_add_co_ci_u32_e64 v26, s0, v5, v26, s0
	v_mov_b32_e32 v13, v19
	v_mad_co_u64_u32 v[18:19], null, s19, v37, v[8:9]
	s_delay_alu instid0(VALU_DEP_2) | instskip(NEXT) | instid1(VALU_DEP_1)
	v_lshlrev_b64_e32 v[12:13], 2, v[12:13]
	v_add_co_u32 v12, s0, v0, v12
	s_wait_alu 0xf1ff
	s_delay_alu instid0(VALU_DEP_2)
	v_add_co_ci_u32_e64 v13, s0, v5, v13, s0
	s_wait_loadcnt 0xf
	v_lshrrev_b32_e32 v74, 16, v24
	s_wait_loadcnt 0xd
	v_lshrrev_b32_e32 v76, 16, v54
	;; [unrolled: 2-line block ×5, first 2 shown]
	s_wait_loadcnt 0x5
	v_mad_co_u64_u32 v[19:20], null, s19, v39, v[10:11]
	v_mov_b32_e32 v10, v18
	s_wait_loadcnt 0x4
	v_lshrrev_b32_e32 v51, 16, v14
	s_wait_loadcnt 0x3
	v_lshrrev_b32_e32 v73, 16, v46
	;; [unrolled: 2-line block ×4, first 2 shown]
	v_lshlrev_b64_e32 v[8:9], 2, v[9:10]
	v_mov_b32_e32 v18, v19
	v_mad_co_u64_u32 v[19:20], null, s18, v40, 0
	s_delay_alu instid0(VALU_DEP_2) | instskip(NEXT) | instid1(VALU_DEP_4)
	v_lshlrev_b64_e32 v[17:18], 2, v[17:18]
	v_add_co_u32 v8, s0, v0, v8
	s_wait_alu 0xf1ff
	v_add_co_ci_u32_e64 v9, s0, v5, v9, s0
	s_delay_alu instid0(VALU_DEP_4)
	v_mov_b32_e32 v10, v20
	v_mov_b32_e32 v20, v29
	v_add_co_u32 v17, s0, v0, v17
	s_wait_alu 0xf1ff
	v_add_co_ci_u32_e64 v18, s0, v5, v18, s0
	v_mad_co_u64_u32 v[29:30], null, s19, v40, v[10:11]
	s_wait_loadcnt 0x0
	v_mad_co_u64_u32 v[41:42], null, s19, v23, v[20:21]
	v_dual_mov_b32 v10, v57 :: v_dual_add_nc_u32 v23, 0x561, v31
	v_add_nc_u32_e32 v30, 0x654, v31
	s_delay_alu instid0(VALU_DEP_4) | instskip(NEXT) | instid1(VALU_DEP_3)
	v_mov_b32_e32 v20, v29
	v_mad_co_u64_u32 v[59:60], null, s18, v23, 0
	v_mov_b32_e32 v29, v41
	v_mad_co_u64_u32 v[41:42], null, s19, v48, v[10:11]
	s_delay_alu instid0(VALU_DEP_4) | instskip(SKIP_1) | instid1(VALU_DEP_4)
	v_lshlrev_b64_e32 v[19:20], 2, v[19:20]
	v_add_nc_u32_e32 v48, 0x747, v31
	v_lshlrev_b64_e32 v[28:29], 2, v[28:29]
	v_mov_b32_e32 v10, v60
	v_mad_co_u64_u32 v[61:62], null, s18, v30, 0
	v_add_co_u32 v19, s0, v0, v19
	s_wait_alu 0xf1ff
	v_add_co_ci_u32_e64 v20, s0, v5, v20, s0
	v_add_co_u32 v28, s0, v0, v28
	s_wait_alu 0xf1ff
	v_add_co_ci_u32_e64 v29, s0, v5, v29, s0
	v_mov_b32_e32 v57, v41
	v_mad_co_u64_u32 v[41:42], null, s19, v23, v[10:11]
	s_clause 0x7
	global_load_b32 v64, v[6:7], off
	global_load_b32 v50, v[15:16], off
	;; [unrolled: 1-line block ×8, first 2 shown]
	v_mad_co_u64_u32 v[66:67], null, s18, v48, 0
	v_mov_b32_e32 v6, v62
	v_add_nc_u32_e32 v10, 0x83a, v31
	v_lshlrev_b64_e32 v[12:13], 2, v[56:57]
	v_mov_b32_e32 v60, v41
	s_delay_alu instid0(VALU_DEP_1) | instskip(NEXT) | instid1(VALU_DEP_3)
	v_lshlrev_b64_e32 v[25:26], 2, v[59:60]
	v_add_co_u32 v12, s0, v0, v12
	s_wait_alu 0xf1ff
	s_delay_alu instid0(VALU_DEP_4) | instskip(NEXT) | instid1(VALU_DEP_3)
	v_add_co_ci_u32_e64 v13, s0, v5, v13, s0
	v_add_co_u32 v28, s0, v0, v25
	s_wait_alu 0xf1ff
	v_add_co_ci_u32_e64 v29, s0, v5, v26, s0
	s_wait_loadcnt 0x7
	v_lshrrev_b32_e32 v71, 16, v64
	s_wait_loadcnt 0x5
	v_lshrrev_b32_e32 v68, 16, v65
	s_wait_loadcnt 0x3
	v_mad_co_u64_u32 v[15:16], null, s19, v30, v[6:7]
	v_mov_b32_e32 v6, v67
	v_add_nc_u32_e32 v30, 0x92d, v31
	v_mad_co_u64_u32 v[16:17], null, s18, v10, 0
	s_delay_alu instid0(VALU_DEP_3) | instskip(NEXT) | instid1(VALU_DEP_3)
	v_mad_co_u64_u32 v[18:19], null, s19, v48, v[6:7]
	v_mad_co_u64_u32 v[19:20], null, s18, v30, 0
	v_mov_b32_e32 v62, v15
	s_delay_alu instid0(VALU_DEP_4) | instskip(SKIP_2) | instid1(VALU_DEP_4)
	v_mov_b32_e32 v6, v17
	v_lshrrev_b32_e32 v48, 16, v11
	v_mov_b32_e32 v67, v18
	v_lshlrev_b64_e32 v[25:26], 2, v[61:62]
	s_delay_alu instid0(VALU_DEP_4) | instskip(SKIP_1) | instid1(VALU_DEP_4)
	v_mad_co_u64_u32 v[17:18], null, s19, v10, v[6:7]
	v_mov_b32_e32 v6, v20
	v_lshlrev_b64_e32 v[56:57], 2, v[66:67]
	v_lshrrev_b32_e32 v67, 16, v47
	v_add_co_u32 v59, s0, v0, v25
	s_delay_alu instid0(VALU_DEP_4)
	v_mad_co_u64_u32 v[41:42], null, s19, v30, v[6:7]
	v_lshlrev_b64_e32 v[15:16], 2, v[16:17]
	s_wait_alu 0xf1ff
	v_add_co_ci_u32_e64 v60, s0, v5, v26, s0
	v_lshrrev_b32_e32 v66, 16, v45
	v_lshrrev_b32_e32 v61, 16, v44
	;; [unrolled: 1-line block ×3, first 2 shown]
	v_mov_b32_e32 v20, v41
	v_add_co_u32 v41, s0, v0, v56
	s_wait_alu 0xf1ff
	v_add_co_ci_u32_e64 v42, s0, v5, v57, s0
	s_delay_alu instid0(VALU_DEP_3) | instskip(SKIP_4) | instid1(VALU_DEP_4)
	v_lshlrev_b64_e32 v[17:18], 2, v[19:20]
	v_add_co_u32 v19, s0, v0, v15
	s_wait_alu 0xf1ff
	v_add_co_ci_u32_e64 v20, s0, v5, v16, s0
	v_lshrrev_b32_e32 v57, 16, v50
	v_add_co_u32 v16, s0, v0, v17
	s_wait_alu 0xf1ff
	v_add_co_ci_u32_e64 v17, s0, v5, v18, s0
	s_clause 0x5
	global_load_b32 v26, v[12:13], off
	global_load_b32 v18, v[28:29], off
	;; [unrolled: 1-line block ×6, first 2 shown]
	v_lshrrev_b32_e32 v59, 16, v27
	v_lshrrev_b32_e32 v60, 16, v55
	;; [unrolled: 1-line block ×4, first 2 shown]
	s_wait_loadcnt 0x8
	v_lshrrev_b32_e32 v12, 16, v8
	s_wait_loadcnt 0x7
	v_lshrrev_b32_e32 v42, 16, v23
	;; [unrolled: 2-line block ×9, first 2 shown]
.LBB0_13:
	s_or_b32 exec_lo, exec_lo, s1
	v_add_f16_e32 v5, v54, v24
	v_add_f16_e32 v0, v52, v53
	v_sub_f16_e32 v6, v76, v69
	v_add_f16_e32 v80, v58, v54
	v_sub_f16_e32 v77, v75, v70
	v_add_f16_e32 v5, v53, v5
	v_fma_f16 v78, -0.5, v0, v24
	v_sub_f16_e32 v0, v54, v53
	v_sub_f16_e32 v79, v58, v52
	v_fmac_f16_e32 v24, -0.5, v80
	v_add_f16_e32 v5, v52, v5
	v_fmamk_f16 v81, v6, 0xbb9c, v78
	v_fmac_f16_e32 v78, 0x3b9c, v6
	v_sub_f16_e32 v82, v53, v54
	v_add_f16_e32 v0, v79, v0
	v_add_f16_e32 v83, v58, v5
	;; [unrolled: 1-line block ×3, first 2 shown]
	v_fmac_f16_e32 v81, 0xb8b4, v77
	v_sub_f16_e32 v79, v52, v58
	v_fmamk_f16 v80, v77, 0x3b9c, v24
	v_fmac_f16_e32 v78, 0x38b4, v77
	v_add_f16_e32 v84, v70, v75
	v_fmac_f16_e32 v24, 0xbb9c, v77
	v_add_f16_e32 v5, v75, v5
	v_fmac_f16_e32 v81, 0x34f2, v0
	v_fmac_f16_e32 v80, 0xb8b4, v6
	v_add_f16_e32 v79, v79, v82
	v_fma_f16 v77, -0.5, v84, v74
	v_sub_f16_e32 v54, v54, v58
	v_fmac_f16_e32 v78, 0x34f2, v0
	v_fmac_f16_e32 v24, 0x38b4, v6
	v_add_f16_e32 v0, v70, v5
	v_add_f16_e32 v5, v69, v76
	v_sub_f16_e32 v6, v53, v52
	v_sub_f16_e32 v52, v76, v75
	;; [unrolled: 1-line block ×3, first 2 shown]
	v_fmac_f16_e32 v80, 0x34f2, v79
	v_fmamk_f16 v82, v54, 0x3b9c, v77
	v_fmac_f16_e32 v24, 0x34f2, v79
	v_fmac_f16_e32 v74, -0.5, v5
	v_add_f16_e32 v79, v69, v0
	v_add_f16_e32 v0, v53, v52
	v_fmac_f16_e32 v77, 0xbb9c, v54
	v_sub_f16_e32 v5, v75, v76
	v_sub_f16_e32 v52, v70, v69
	v_add_f16_e32 v58, v47, v27
	v_fmac_f16_e32 v82, 0x38b4, v6
	v_fmamk_f16 v53, v6, 0xbb9c, v74
	v_fmac_f16_e32 v77, 0xb8b4, v6
	v_add_f16_e32 v5, v52, v5
	v_fmac_f16_e32 v74, 0x3b9c, v6
	v_add_f16_e32 v6, v45, v58
	v_add_f16_e32 v52, v44, v45
	v_fmac_f16_e32 v82, 0x34f2, v0
	v_fmac_f16_e32 v53, 0x38b4, v54
	;; [unrolled: 1-line block ×4, first 2 shown]
	v_add_f16_e32 v0, v44, v6
	v_fma_f16 v6, -0.5, v52, v27
	v_add_f16_e32 v52, v55, v47
	v_sub_f16_e32 v54, v67, v60
	v_fmac_f16_e32 v53, 0x34f2, v5
	v_fmac_f16_e32 v74, 0x34f2, v5
	v_add_f16_e32 v69, v55, v0
	v_sub_f16_e32 v0, v66, v61
	v_fmac_f16_e32 v27, -0.5, v52
	v_fmamk_f16 v5, v54, 0xbb9c, v6
	v_sub_f16_e32 v52, v47, v45
	v_sub_f16_e32 v58, v55, v44
	v_fmac_f16_e32 v6, 0x3b9c, v54
	v_fmamk_f16 v70, v0, 0x3b9c, v27
	v_fmac_f16_e32 v5, 0xb8b4, v0
	v_sub_f16_e32 v75, v45, v47
	v_add_f16_e32 v52, v58, v52
	v_fmac_f16_e32 v6, 0x38b4, v0
	v_sub_f16_e32 v76, v44, v55
	v_fmac_f16_e32 v27, 0xbb9c, v0
	v_add_f16_e32 v0, v61, v66
	v_fmac_f16_e32 v5, 0x34f2, v52
	v_fmac_f16_e32 v6, 0x34f2, v52
	v_add_f16_e32 v52, v60, v67
	v_fmac_f16_e32 v70, 0xb8b4, v54
	v_add_f16_e32 v58, v76, v75
	v_fmac_f16_e32 v27, 0x38b4, v54
	v_fma_f16 v54, -0.5, v0, v59
	v_sub_f16_e32 v0, v47, v55
	v_add_f16_e32 v47, v67, v59
	v_sub_f16_e32 v44, v45, v44
	v_fmac_f16_e32 v59, -0.5, v52
	v_fmac_f16_e32 v70, 0x34f2, v58
	v_fmac_f16_e32 v27, 0x34f2, v58
	v_fmamk_f16 v52, v0, 0x3b9c, v54
	v_sub_f16_e32 v45, v67, v66
	v_sub_f16_e32 v55, v60, v61
	v_fmamk_f16 v58, v44, 0xbb9c, v59
	v_sub_f16_e32 v67, v66, v67
	v_sub_f16_e32 v75, v61, v60
	v_fmac_f16_e32 v59, 0x3b9c, v44
	v_fmac_f16_e32 v54, 0xbb9c, v0
	v_add_f16_e32 v45, v55, v45
	v_fmac_f16_e32 v58, 0x38b4, v0
	v_add_f16_e32 v55, v75, v67
	v_fmac_f16_e32 v59, 0xb8b4, v0
	v_fmac_f16_e32 v54, 0xb8b4, v44
	v_fmac_f16_e32 v52, 0x38b4, v44
	v_add_f16_e32 v0, v66, v47
	v_fmac_f16_e32 v58, 0x34f2, v55
	v_fmac_f16_e32 v59, 0x34f2, v55
	;; [unrolled: 1-line block ×4, first 2 shown]
	v_mul_f16_e32 v86, 0x38b4, v5
	v_mul_f16_e32 v75, 0xbb9c, v58
	;; [unrolled: 1-line block ×5, first 2 shown]
	v_add_f16_e32 v0, v61, v0
	v_mul_f16_e32 v55, 0xb8b4, v52
	v_fmac_f16_e32 v75, 0x34f2, v70
	v_fmac_f16_e32 v76, 0xb4f2, v27
	;; [unrolled: 1-line block ×5, first 2 shown]
	v_add_f16_e32 v6, v64, v43
	v_add_f16_e32 v84, v60, v0
	v_fmac_f16_e32 v55, 0x3a79, v5
	v_add_f16_e32 v45, v80, v75
	v_add_f16_e32 v47, v24, v76
	v_mul_f16_e32 v87, 0x3b9c, v70
	v_mul_f16_e32 v88, 0xb4f2, v59
	v_add_f16_e32 v59, v82, v86
	v_sub_f16_e32 v70, v80, v75
	v_sub_f16_e32 v24, v24, v76
	v_add_f16_e32 v54, v46, v11
	v_fma_f16 v75, -0.5, v6, v11
	v_sub_f16_e32 v76, v73, v68
	v_sub_f16_e32 v52, v82, v86
	v_add_f16_e32 v82, v65, v46
	v_add_f16_e32 v0, v69, v83
	v_add_f16_e32 v44, v81, v55
	v_add_f16_e32 v66, v78, v85
	v_fmac_f16_e32 v87, 0x34f2, v58
	v_fmac_f16_e32 v88, 0x3b9c, v27
	v_add_f16_e32 v58, v84, v79
	v_sub_f16_e32 v27, v83, v69
	v_sub_f16_e32 v67, v81, v55
	;; [unrolled: 1-line block ×4, first 2 shown]
	v_add_f16_e32 v55, v43, v54
	v_fmamk_f16 v78, v76, 0xbb9c, v75
	v_sub_f16_e32 v79, v72, v71
	v_sub_f16_e32 v80, v46, v43
	;; [unrolled: 1-line block ×3, first 2 shown]
	v_fmac_f16_e32 v11, -0.5, v82
	v_fmac_f16_e32 v75, 0x3b9c, v76
	v_add_f16_e32 v83, v73, v48
	v_add_f16_e32 v61, v74, v88
	;; [unrolled: 1-line block ×3, first 2 shown]
	v_sub_f16_e32 v54, v74, v88
	v_add_f16_e32 v74, v64, v55
	v_fmac_f16_e32 v78, 0xb8b4, v79
	v_add_f16_e32 v80, v81, v80
	v_sub_f16_e32 v55, v77, v89
	v_fmamk_f16 v77, v79, 0x3b9c, v11
	v_sub_f16_e32 v81, v43, v46
	v_sub_f16_e32 v82, v64, v65
	v_fmac_f16_e32 v75, 0x38b4, v79
	v_add_f16_e32 v84, v71, v72
	v_fmac_f16_e32 v11, 0xbb9c, v79
	v_add_f16_e32 v79, v72, v83
	v_add_f16_e32 v74, v65, v74
	;; [unrolled: 1-line block ×3, first 2 shown]
	v_fma_f16 v82, -0.5, v84, v48
	v_sub_f16_e32 v46, v46, v65
	v_add_f16_e32 v65, v71, v79
	v_add_f16_e32 v79, v68, v73
	v_fmac_f16_e32 v78, 0x34f2, v80
	v_fmac_f16_e32 v77, 0xb8b4, v76
	;; [unrolled: 1-line block ×4, first 2 shown]
	v_fmamk_f16 v76, v46, 0x3b9c, v82
	v_sub_f16_e32 v43, v43, v64
	v_sub_f16_e32 v64, v73, v72
	;; [unrolled: 1-line block ×3, first 2 shown]
	v_fmac_f16_e32 v48, -0.5, v79
	v_fmac_f16_e32 v82, 0xbb9c, v46
	v_add_f16_e32 v65, v68, v65
	v_fmac_f16_e32 v76, 0x38b4, v43
	v_add_f16_e32 v64, v80, v64
	v_fmamk_f16 v79, v43, 0xbb9c, v48
	v_sub_f16_e32 v72, v72, v73
	v_sub_f16_e32 v68, v71, v68
	v_add_f16_e32 v71, v22, v14
	v_fmac_f16_e32 v82, 0xb8b4, v43
	v_fmac_f16_e32 v48, 0x3b9c, v43
	v_fmac_f16_e32 v76, 0x34f2, v64
	v_fmac_f16_e32 v79, 0x38b4, v46
	v_add_f16_e32 v68, v68, v72
	v_add_f16_e32 v43, v21, v71
	;; [unrolled: 1-line block ×3, first 2 shown]
	v_fmac_f16_e32 v82, 0x34f2, v64
	v_fmac_f16_e32 v48, 0xb8b4, v46
	v_add_f16_e32 v64, v49, v22
	v_fmac_f16_e32 v79, 0x34f2, v68
	v_fma_f16 v46, -0.5, v71, v14
	v_sub_f16_e32 v71, v63, v56
	v_fmac_f16_e32 v48, 0x34f2, v68
	v_sub_f16_e32 v68, v62, v57
	v_fmac_f16_e32 v14, -0.5, v64
	v_fmac_f16_e32 v77, 0x34f2, v81
	v_fmamk_f16 v64, v71, 0xbb9c, v46
	v_fmac_f16_e32 v46, 0x3b9c, v71
	v_fmac_f16_e32 v11, 0x34f2, v81
	v_fmamk_f16 v80, v68, 0x3b9c, v14
	v_fmac_f16_e32 v14, 0xbb9c, v68
	v_add_f16_e32 v43, v50, v43
	v_sub_f16_e32 v72, v22, v21
	v_sub_f16_e32 v73, v49, v50
	;; [unrolled: 1-line block ×4, first 2 shown]
	v_fmac_f16_e32 v64, 0xb8b4, v68
	v_fmac_f16_e32 v46, 0x38b4, v68
	;; [unrolled: 1-line block ×3, first 2 shown]
	v_add_f16_e32 v68, v57, v62
	v_fmac_f16_e32 v14, 0x38b4, v71
	v_add_f16_e32 v71, v56, v63
	v_add_f16_e32 v43, v49, v43
	;; [unrolled: 1-line block ×4, first 2 shown]
	v_fma_f16 v68, -0.5, v68, v51
	v_sub_f16_e32 v22, v22, v49
	v_add_f16_e32 v49, v63, v51
	v_sub_f16_e32 v21, v21, v50
	v_fmac_f16_e32 v51, -0.5, v71
	v_fmac_f16_e32 v64, 0x34f2, v72
	v_fmac_f16_e32 v46, 0x34f2, v72
	;; [unrolled: 1-line block ×4, first 2 shown]
	v_fmamk_f16 v50, v22, 0x3b9c, v68
	v_sub_f16_e32 v71, v63, v62
	v_sub_f16_e32 v72, v56, v57
	v_fmamk_f16 v73, v21, 0xbb9c, v51
	v_sub_f16_e32 v63, v62, v63
	v_sub_f16_e32 v81, v57, v56
	v_fmac_f16_e32 v51, 0x3b9c, v21
	v_fmac_f16_e32 v68, 0xbb9c, v22
	v_add_f16_e32 v71, v72, v71
	v_fmac_f16_e32 v73, 0x38b4, v22
	v_add_f16_e32 v63, v81, v63
	;; [unrolled: 2-line block ×3, first 2 shown]
	v_fmac_f16_e32 v68, 0xb8b4, v21
	v_fmac_f16_e32 v50, 0x38b4, v21
	;; [unrolled: 1-line block ×4, first 2 shown]
	v_add_f16_e32 v21, v57, v22
	v_fmac_f16_e32 v68, 0x34f2, v71
	v_fmac_f16_e32 v50, 0x34f2, v71
	v_mul_f16_e32 v49, 0xbb9c, v73
	v_mul_f16_e32 v57, 0xbb9c, v51
	v_add_f16_e32 v21, v56, v21
	v_mul_f16_e32 v56, 0xb8b4, v68
	v_mul_f16_e32 v22, 0xb8b4, v50
	v_fmac_f16_e32 v49, 0x34f2, v80
	v_mul_f16_e32 v51, 0xb4f2, v51
	v_mul_f16_e32 v68, 0xba79, v68
	v_fmac_f16_e32 v56, 0xba79, v46
	v_fmac_f16_e32 v22, 0x3a79, v64
	;; [unrolled: 1-line block ×3, first 2 shown]
	v_add_f16_e32 v62, v43, v74
	v_add_f16_e32 v71, v77, v49
	v_mul_f16_e32 v64, 0x38b4, v64
	v_mul_f16_e32 v80, 0x3b9c, v80
	v_add_f16_e32 v81, v75, v56
	v_fmac_f16_e32 v51, 0x3b9c, v14
	v_fmac_f16_e32 v68, 0x38b4, v46
	v_sub_f16_e32 v14, v74, v43
	v_add_f16_e32 v43, v25, v26
	v_sub_f16_e32 v46, v77, v49
	v_sub_f16_e32 v49, v75, v56
	v_add_f16_e32 v75, v30, v23
	v_add_f16_e32 v72, v11, v57
	v_fmac_f16_e32 v64, 0x3a79, v50
	v_fmac_f16_e32 v80, 0x34f2, v73
	v_sub_f16_e32 v11, v11, v57
	v_add_f16_e32 v50, v23, v7
	v_fma_f16 v43, -0.5, v43, v7
	v_sub_f16_e32 v56, v42, v28
	v_sub_f16_e32 v57, v41, v29
	;; [unrolled: 1-line block ×4, first 2 shown]
	v_fmac_f16_e32 v7, -0.5, v75
	v_add_f16_e32 v83, v21, v65
	v_add_f16_e32 v84, v76, v64
	;; [unrolled: 1-line block ×3, first 2 shown]
	v_sub_f16_e32 v65, v65, v21
	v_sub_f16_e32 v64, v76, v64
	v_add_f16_e32 v21, v26, v50
	v_fmamk_f16 v50, v56, 0xbb9c, v43
	v_sub_f16_e32 v88, v48, v51
	v_add_f16_e32 v48, v74, v73
	v_fmac_f16_e32 v43, 0x3b9c, v56
	v_fmamk_f16 v51, v57, 0x3b9c, v7
	v_sub_f16_e32 v73, v26, v23
	v_sub_f16_e32 v74, v25, v30
	v_add_f16_e32 v75, v42, v10
	v_add_f16_e32 v76, v29, v41
	v_fmac_f16_e32 v7, 0xbb9c, v57
	v_add_f16_e32 v21, v25, v21
	v_fmac_f16_e32 v50, 0xb8b4, v57
	v_fmac_f16_e32 v43, 0x38b4, v57
	;; [unrolled: 1-line block ×3, first 2 shown]
	v_add_f16_e32 v73, v74, v73
	v_add_f16_e32 v57, v41, v75
	v_fma_f16 v74, -0.5, v76, v10
	v_sub_f16_e32 v23, v23, v30
	v_fmac_f16_e32 v7, 0x38b4, v56
	v_add_f16_e32 v56, v28, v42
	v_add_f16_e32 v21, v30, v21
	v_fmac_f16_e32 v50, 0x34f2, v48
	v_fmac_f16_e32 v43, 0x34f2, v48
	v_add_f16_e32 v30, v29, v57
	v_fmamk_f16 v48, v23, 0x3b9c, v74
	v_sub_f16_e32 v25, v26, v25
	v_sub_f16_e32 v26, v42, v41
	;; [unrolled: 1-line block ×3, first 2 shown]
	v_fmac_f16_e32 v10, -0.5, v56
	v_fmac_f16_e32 v74, 0xbb9c, v23
	v_add_f16_e32 v30, v28, v30
	v_fmac_f16_e32 v48, 0x38b4, v25
	v_add_f16_e32 v26, v57, v26
	v_fmamk_f16 v56, v25, 0xbb9c, v10
	v_sub_f16_e32 v41, v41, v42
	v_sub_f16_e32 v28, v29, v28
	v_add_f16_e32 v29, v9, v8
	v_fmac_f16_e32 v74, 0xb8b4, v25
	v_fmac_f16_e32 v10, 0x3b9c, v25
	;; [unrolled: 1-line block ×4, first 2 shown]
	v_add_f16_e32 v28, v28, v41
	v_add_f16_e32 v25, v18, v29
	;; [unrolled: 1-line block ×3, first 2 shown]
	v_fmac_f16_e32 v74, 0x34f2, v26
	v_fmac_f16_e32 v10, 0xb8b4, v23
	v_add_f16_e32 v26, v17, v9
	v_fmac_f16_e32 v56, 0x34f2, v28
	v_add_f16_e32 v23, v15, v25
	v_fma_f16 v25, -0.5, v29, v8
	v_sub_f16_e32 v29, v20, v13
	v_fmac_f16_e32 v10, 0x34f2, v28
	v_sub_f16_e32 v28, v19, v16
	v_fmac_f16_e32 v8, -0.5, v26
	v_fmac_f16_e32 v51, 0x34f2, v73
	v_fmamk_f16 v26, v29, 0xbb9c, v25
	v_fmac_f16_e32 v25, 0x3b9c, v29
	v_fmac_f16_e32 v7, 0x34f2, v73
	v_fmamk_f16 v57, v28, 0x3b9c, v8
	v_fmac_f16_e32 v8, 0xbb9c, v28
	v_sub_f16_e32 v41, v9, v18
	v_sub_f16_e32 v42, v17, v15
	;; [unrolled: 1-line block ×4, first 2 shown]
	v_fmac_f16_e32 v26, 0xb8b4, v28
	v_fmac_f16_e32 v25, 0x38b4, v28
	;; [unrolled: 1-line block ×3, first 2 shown]
	v_add_f16_e32 v28, v16, v19
	v_fmac_f16_e32 v8, 0x38b4, v29
	v_add_f16_e32 v29, v13, v20
	v_add_f16_e32 v23, v17, v23
	;; [unrolled: 1-line block ×4, first 2 shown]
	v_fma_f16 v28, -0.5, v28, v12
	v_sub_f16_e32 v9, v9, v17
	v_add_f16_e32 v17, v20, v12
	v_sub_f16_e32 v15, v18, v15
	v_fmac_f16_e32 v12, -0.5, v29
	v_fmac_f16_e32 v57, 0x34f2, v42
	v_fmac_f16_e32 v8, 0x34f2, v42
	v_sub_f16_e32 v29, v20, v19
	v_sub_f16_e32 v20, v19, v20
	v_fmamk_f16 v42, v15, 0xbb9c, v12
	v_sub_f16_e32 v73, v16, v13
	v_fmac_f16_e32 v12, 0x3b9c, v15
	v_fmac_f16_e32 v26, 0x34f2, v41
	;; [unrolled: 1-line block ×3, first 2 shown]
	v_fmamk_f16 v18, v9, 0x3b9c, v28
	v_add_f16_e32 v20, v73, v20
	v_fmac_f16_e32 v12, 0xb8b4, v9
	v_sub_f16_e32 v41, v13, v16
	v_fmac_f16_e32 v28, 0xbb9c, v9
	v_fmac_f16_e32 v18, 0x38b4, v15
	;; [unrolled: 1-line block ×4, first 2 shown]
	v_add_f16_e32 v29, v41, v29
	v_add_f16_e32 v9, v19, v17
	v_fmac_f16_e32 v28, 0xb8b4, v15
	v_fmac_f16_e32 v42, 0x34f2, v20
	v_mul_f16_e32 v17, 0xbb9c, v12
	v_fmac_f16_e32 v18, 0x34f2, v29
	v_add_f16_e32 v9, v16, v9
	v_mul_f16_e32 v41, 0x3b9c, v57
	v_fmac_f16_e32 v28, 0x34f2, v29
	v_fmac_f16_e32 v17, 0xb4f2, v8
	v_mul_f16_e32 v12, 0xb4f2, v12
	v_mul_f16_e32 v15, 0xb8b4, v18
	;; [unrolled: 1-line block ×3, first 2 shown]
	v_add_f16_e32 v9, v13, v9
	v_add_f16_e32 v73, v7, v17
	v_fmac_f16_e32 v41, 0x34f2, v42
	v_sub_f16_e32 v7, v7, v17
	v_mul_u32_u24_e32 v17, 10, v31
	v_mul_f16_e32 v13, 0xb8b4, v28
	v_fmac_f16_e32 v12, 0x3b9c, v8
	v_fmac_f16_e32 v15, 0x3a79, v26
	v_mul_f16_e32 v26, 0x38b4, v26
	v_fmac_f16_e32 v16, 0x34f2, v57
	v_add_f16_e32 v89, v9, v30
	v_add_f16_e32 v91, v56, v41
	v_sub_f16_e32 v94, v30, v9
	v_sub_f16_e32 v96, v56, v41
	v_lshl_add_u32 v56, v17, 1, 0
	v_pack_b32_f16 v9, v45, v47
	v_pack_b32_f16 v0, v0, v44
	v_fmac_f16_e32 v13, 0xba79, v25
	v_add_f16_e32 v92, v10, v12
	v_sub_f16_e32 v97, v10, v12
	v_pack_b32_f16 v10, v67, v70
	v_pack_b32_f16 v12, v66, v27
	v_add_f16_e32 v63, v78, v22
	v_fmac_f16_e32 v26, 0x3a79, v18
	v_pack_b32_f16 v17, v24, v69
	v_mul_i32_i24_e32 v18, 10, v34
	v_sub_f16_e32 v22, v78, v22
	s_load_b64 s[2:3], s[2:3], 0x0
	v_add_f16_e32 v19, v23, v21
	v_add_f16_e32 v20, v50, v15
	;; [unrolled: 1-line block ×3, first 2 shown]
	ds_store_2addr_b32 v56, v0, v9 offset1:1
	ds_store_2addr_b32 v56, v12, v10 offset0:2 offset1:3
	ds_store_b32 v56, v17 offset:16
	v_mul_i32_i24_e32 v10, 10, v37
	v_add_f16_e32 v57, v43, v13
	v_sub_f16_e32 v8, v21, v23
	v_sub_f16_e32 v15, v50, v15
	;; [unrolled: 1-line block ×4, first 2 shown]
	v_lshl_add_u32 v0, v18, 1, 0
	v_pack_b32_f16 v9, v71, v72
	v_pack_b32_f16 v12, v62, v63
	;; [unrolled: 1-line block ×5, first 2 shown]
	v_lshl_add_u32 v41, v10, 1, 0
	v_pack_b32_f16 v10, v29, v73
	v_pack_b32_f16 v18, v19, v20
	;; [unrolled: 1-line block ×4, first 2 shown]
	v_add_f16_e32 v60, v53, v87
	v_mul_f16_e32 v28, 0xba79, v28
	v_pack_b32_f16 v7, v7, v13
	ds_store_2addr_b32 v0, v12, v9 offset1:1
	ds_store_2addr_b32 v0, v14, v17 offset0:2 offset1:3
	ds_store_b32 v0, v11 offset:16
	ds_store_2addr_b32 v41, v18, v10 offset1:1
	ds_store_2addr_b32 v41, v8, v15 offset0:2 offset1:3
	ds_store_b32 v41, v7 offset:16
	v_and_b32_e32 v9, 0xff, v31
	v_sub_f16_e32 v53, v53, v87
	v_add_f16_e32 v85, v79, v80
	v_fmac_f16_e32 v28, 0x38b4, v25
	v_mad_i32_i24 v42, 0xffffffee, v31, v56
	v_pack_b32_f16 v7, v60, v61
	v_pack_b32_f16 v8, v58, v59
	v_mul_lo_u16 v15, 0xcd, v9
	v_add_f16_e32 v87, v82, v68
	v_sub_f16_e32 v79, v79, v80
	v_pack_b32_f16 v13, v52, v53
	v_pack_b32_f16 v5, v5, v6
	v_sub_f16_e32 v68, v82, v68
	v_pack_b32_f16 v6, v54, v55
	v_lshl_add_u32 v45, v39, 1, 0
	v_mad_i32_i24 v50, 0xffffffee, v37, v41
	v_add_f16_e32 v90, v48, v26
	v_add_f16_e32 v93, v74, v28
	v_sub_f16_e32 v95, v48, v26
	v_sub_f16_e32 v66, v74, v28
	global_wb scope:SCOPE_SE
	s_wait_dscnt 0x0
	s_wait_kmcnt 0x0
	s_barrier_signal -1
	s_barrier_wait -1
	global_inv scope:SCOPE_SE
	v_mad_i32_i24 v51, 0xffffffee, v34, v0
	v_lshl_add_u32 v43, v32, 1, 0
	v_lshl_add_u32 v44, v35, 1, 0
	ds_load_u16 v74, v42 offset:3564
	ds_load_u16 v71, v42 offset:3726
	;; [unrolled: 1-line block ×3, first 2 shown]
	ds_load_u16 v14, v45
	v_lshl_add_u32 v46, v33, 1, 0
	v_lshl_add_u32 v47, v36, 1, 0
	;; [unrolled: 1-line block ×3, first 2 shown]
	ds_load_u16 v21, v42
	ds_load_u16 v80, v42 offset:1620
	ds_load_u16 v78, v42 offset:1782
	;; [unrolled: 1-line block ×7, first 2 shown]
	ds_load_u16 v17, v46
	ds_load_u16 v11, v47
	ds_load_u16 v10, v48
	ds_load_u16 v27, v42 offset:2754
	ds_load_u16 v23, v42 offset:2916
	v_lshl_add_u32 v49, v38, 1, 0
	ds_load_u16 v57, v42 offset:4050
	ds_load_u16 v30, v42 offset:4212
	;; [unrolled: 1-line block ×4, first 2 shown]
	ds_load_u16 v19, v50
	ds_load_u16 v22, v51
	ds_load_u16 v12, v49
	ds_load_u16 v81, v42 offset:3402
	ds_load_u16 v82, v42 offset:3240
	;; [unrolled: 1-line block ×3, first 2 shown]
	ds_load_u16 v18, v44
	ds_load_u16 v20, v43
	ds_load_u16 v26, v42 offset:4698
	global_wb scope:SCOPE_SE
	s_wait_dscnt 0x0
	s_barrier_signal -1
	s_barrier_wait -1
	global_inv scope:SCOPE_SE
	ds_store_2addr_b32 v56, v8, v7 offset1:1
	ds_store_2addr_b32 v56, v5, v13 offset0:2 offset1:3
	ds_store_b32 v56, v6 offset:16
	v_pack_b32_f16 v5, v85, v86
	v_pack_b32_f16 v6, v83, v84
	v_lshrrev_b16 v56, 11, v15
	v_and_b32_e32 v8, 0xff, v34
	v_pack_b32_f16 v7, v64, v79
	v_pack_b32_f16 v13, v87, v65
	;; [unrolled: 1-line block ×3, first 2 shown]
	v_mul_lo_u16 v16, v56, 10
	ds_store_2addr_b32 v0, v6, v5 offset1:1
	ds_store_2addr_b32 v0, v13, v7 offset0:2 offset1:3
	ds_store_b32 v0, v15 offset:16
	v_mul_lo_u16 v7, 0xcd, v8
	v_pack_b32_f16 v5, v91, v92
	v_sub_nc_u16 v13, v31, v16
	v_pack_b32_f16 v6, v89, v90
	v_pack_b32_f16 v15, v95, v96
	v_lshrrev_b16 v58, 11, v7
	v_and_b32_e32 v7, 0xff, v37
	v_and_b32_e32 v60, 0xff, v13
	v_pack_b32_f16 v16, v93, v94
	v_pack_b32_f16 v52, v97, v66
	ds_store_2addr_b32 v41, v6, v5 offset1:1
	ds_store_2addr_b32 v41, v16, v15 offset0:2 offset1:3
	ds_store_b32 v41, v52 offset:16
	v_mul_lo_u16 v13, 0xcd, v7
	v_mul_lo_u16 v5, v58, 10
	v_lshlrev_b32_e32 v6, 3, v60
	global_wb scope:SCOPE_SE
	s_wait_dscnt 0x0
	s_barrier_signal -1
	v_lshrrev_b16 v59, 11, v13
	s_barrier_wait -1
	global_inv scope:SCOPE_SE
	global_load_b64 v[89:90], v6, s[8:9]
	v_sub_nc_u16 v5, v34, v5
	v_mul_lo_u16 v6, v59, 10
	v_and_b32_e32 v13, 0xffff, v32
	v_and_b32_e32 v16, 0xffff, v35
	;; [unrolled: 1-line block ×4, first 2 shown]
	v_sub_nc_u16 v5, v37, v6
	v_mul_u32_u24_e32 v15, 0xcccd, v13
	v_and_b32_e32 v56, 0xffff, v56
	v_mul_u32_u24_e32 v53, 0xcccd, v55
	v_lshlrev_b32_e32 v6, 3, v62
	v_and_b32_e32 v63, 0xff, v5
	v_lshrrev_b32_e32 v61, 19, v15
	v_and_b32_e32 v15, 0xffff, v39
	v_lshrrev_b32_e32 v70, 19, v53
	global_load_b64 v[91:92], v6, s[8:9]
	v_lshlrev_b32_e32 v52, 3, v63
	v_mul_lo_u16 v5, v61, 10
	v_and_b32_e32 v53, 0xffff, v40
	v_mul_lo_u16 v54, v70, 10
	v_lshlrev_b32_e32 v60, 1, v60
	global_load_b64 v[93:94], v52, s[8:9]
	v_mul_u32_u24_e32 v6, 0xcccd, v16
	v_sub_nc_u16 v5, v32, v5
	v_sub_nc_u16 v54, v33, v54
	v_mul_u32_u24_e32 v84, 0xcccd, v53
	v_mul_u32_u24_e32 v56, 60, v56
	v_lshrrev_b32_e32 v64, 19, v6
	v_and_b32_e32 v65, 0xffff, v5
	v_mul_u32_u24_e32 v5, 0xcccd, v15
	v_and_b32_e32 v83, 0xffff, v54
	v_and_b32_e32 v54, 0xffff, v38
	v_mul_lo_u16 v6, v64, 10
	v_lshlrev_b32_e32 v52, 3, v65
	v_lshrrev_b32_e32 v66, 19, v5
	v_add3_u32 v60, 0, v56, v60
	v_mul_u32_u24_e32 v87, 0xcccd, v54
	v_sub_nc_u16 v5, v35, v6
	global_load_b64 v[101:102], v52, s[8:9]
	v_mul_lo_u16 v6, v66, 10
	v_and_b32_e32 v56, 0xffff, v58
	v_lshlrev_b32_e32 v58, 1, v62
	v_and_b32_e32 v69, 0xffff, v5
	v_and_b32_e32 v59, 0xffff, v59
	v_sub_nc_u16 v5, v39, v6
	v_mul_u32_u24_e32 v56, 60, v56
	v_mul_lo_u16 v9, 0x89, v9
	v_lshlrev_b32_e32 v6, 3, v69
	v_cmp_gt_u32_e64 s0, 9, v31
	v_and_b32_e32 v72, 0xffff, v5
	v_add3_u32 v58, 0, v56, v58
	v_mul_u32_u24_e32 v56, 60, v61
	global_load_b64 v[103:104], v6, s[8:9]
	v_and_b32_e32 v52, 0xffff, v36
	v_lshlrev_b32_e32 v6, 3, v72
	v_lshrrev_b16 v9, 12, v9
	s_delay_alu instid0(VALU_DEP_3) | instskip(NEXT) | instid1(VALU_DEP_1)
	v_mul_u32_u24_e32 v5, 0xcccd, v52
	v_lshrrev_b32_e32 v68, 19, v5
	global_load_b64 v[5:6], v6, s[8:9]
	v_mul_lo_u16 v79, v68, 10
	s_delay_alu instid0(VALU_DEP_1) | instskip(SKIP_2) | instid1(VALU_DEP_3)
	v_sub_nc_u16 v85, v36, v79
	v_lshrrev_b32_e32 v79, 19, v84
	v_lshlrev_b32_e32 v84, 3, v83
	v_and_b32_e32 v86, 0xffff, v85
	s_delay_alu instid0(VALU_DEP_3)
	v_mul_lo_u16 v85, v79, 10
	global_load_b64 v[105:106], v84, s[8:9]
	v_lshlrev_b32_e32 v88, 3, v86
	v_sub_nc_u16 v85, v40, v85
	global_load_b64 v[107:108], v88, s[8:9]
	v_lshrrev_b32_e32 v84, 19, v87
	v_and_b32_e32 v85, 0xffff, v85
	s_delay_alu instid0(VALU_DEP_2) | instskip(NEXT) | instid1(VALU_DEP_2)
	v_mul_lo_u16 v87, v84, 10
	v_lshlrev_b32_e32 v88, 3, v85
	s_delay_alu instid0(VALU_DEP_2) | instskip(SKIP_2) | instid1(VALU_DEP_1)
	v_sub_nc_u16 v87, v38, v87
	global_load_b64 v[109:110], v88, s[8:9]
	v_and_b32_e32 v87, 0xffff, v87
	v_lshlrev_b32_e32 v88, 3, v87
	global_load_b64 v[111:112], v88, s[8:9]
	ds_load_u16 v95, v42 offset:1620
	ds_load_u16 v96, v42 offset:3240
	;; [unrolled: 1-line block ×8, first 2 shown]
	ds_load_u16 v88, v42
	ds_load_u16 v119, v42 offset:3402
	ds_load_u16 v120, v42 offset:3564
	;; [unrolled: 1-line block ×7, first 2 shown]
	s_wait_loadcnt 0x9
	v_lshrrev_b32_e32 v97, 16, v89
	v_lshrrev_b32_e32 v98, 16, v90
	s_wait_dscnt 0xf
	s_delay_alu instid0(VALU_DEP_2)
	v_mul_f16_e32 v118, v95, v97
	v_mul_f16_e32 v97, v80, v97
	s_wait_dscnt 0xe
	v_mul_f16_e32 v126, v96, v98
	v_mul_f16_e32 v98, v82, v98
	v_fmac_f16_e32 v118, v80, v89
	v_fma_f16 v127, v95, v89, -v97
	s_delay_alu instid0(VALU_DEP_4) | instskip(NEXT) | instid1(VALU_DEP_4)
	v_fmac_f16_e32 v126, v82, v90
	v_fma_f16 v128, v96, v90, -v98
	s_wait_loadcnt 0x8
	v_lshrrev_b32_e32 v80, 16, v91
	v_lshrrev_b32_e32 v82, 16, v92
	s_wait_dscnt 0xd
	s_delay_alu instid0(VALU_DEP_2)
	v_mul_f16_e32 v95, v99, v80
	v_mul_f16_e32 v80, v78, v80
	s_wait_loadcnt 0x7
	v_lshrrev_b32_e32 v89, 16, v93
	s_wait_dscnt 0x6
	v_mul_f16_e32 v98, v119, v82
	v_fmac_f16_e32 v95, v78, v91
	v_mul_f16_e32 v78, v81, v82
	v_fma_f16 v100, v99, v91, -v80
	v_mul_f16_e32 v80, v113, v89
	v_lshrrev_b32_e32 v82, 16, v94
	v_fmac_f16_e32 v98, v81, v92
	v_fma_f16 v99, v119, v92, -v78
	v_mul_f16_e32 v78, v77, v89
	v_fmac_f16_e32 v80, v77, v93
	s_wait_dscnt 0x5
	v_mul_f16_e32 v81, v120, v82
	v_mul_f16_e32 v82, v74, v82
	v_fma_f16 v91, v113, v93, -v78
	s_wait_loadcnt 0x6
	v_lshrrev_b32_e32 v77, 16, v101
	v_lshrrev_b32_e32 v78, 16, v102
	v_fmac_f16_e32 v81, v74, v94
	v_fma_f16 v90, v120, v94, -v82
	s_delay_alu instid0(VALU_DEP_4) | instskip(SKIP_3) | instid1(VALU_DEP_3)
	v_mul_f16_e32 v89, v114, v77
	s_wait_dscnt 0x4
	v_mul_f16_e32 v93, v121, v78
	v_mul_f16_e32 v74, v76, v77
	v_fmac_f16_e32 v89, v76, v101
	v_mul_f16_e32 v76, v71, v78
	s_delay_alu instid0(VALU_DEP_4) | instskip(NEXT) | instid1(VALU_DEP_4)
	v_fmac_f16_e32 v93, v71, v102
	v_fma_f16 v97, v114, v101, -v74
	s_wait_loadcnt 0x5
	v_lshrrev_b32_e32 v71, 16, v104
	ds_load_u16 v74, v42 offset:4050
	v_lshrrev_b32_e32 v78, 16, v103
	v_fma_f16 v96, v121, v102, -v76
	s_wait_dscnt 0x4
	v_mul_f16_e32 v82, v122, v71
	v_mul_f16_e32 v71, v67, v71
	;; [unrolled: 1-line block ×4, first 2 shown]
	s_delay_alu instid0(VALU_DEP_4)
	v_fmac_f16_e32 v82, v67, v104
	ds_load_u16 v67, v42 offset:4212
	s_wait_loadcnt 0x4
	v_lshrrev_b32_e32 v78, 16, v5
	v_fmac_f16_e32 v77, v75, v103
	v_fma_f16 v94, v115, v103, -v76
	v_fma_f16 v92, v122, v104, -v71
	v_lshrrev_b32_e32 v71, 16, v6
	v_mul_f16_e32 v75, v116, v78
	v_mul_f16_e32 v76, v73, v78
	s_wait_dscnt 0x1
	s_delay_alu instid0(VALU_DEP_3) | instskip(NEXT) | instid1(VALU_DEP_3)
	v_mul_f16_e32 v113, v74, v71
	v_fmac_f16_e32 v75, v73, v5
	ds_load_u16 v73, v42 offset:4374
	ds_load_u16 v78, v42 offset:4536
	;; [unrolled: 1-line block ×3, first 2 shown]
	ds_load_u16 v102, v45
	ds_load_u16 v103, v44
	;; [unrolled: 1-line block ×3, first 2 shown]
	v_mul_f16_e32 v71, v57, v71
	v_fma_f16 v5, v116, v5, -v76
	v_fmac_f16_e32 v113, v57, v6
	s_wait_loadcnt 0x3
	v_lshrrev_b32_e32 v114, 16, v105
	v_lshrrev_b32_e32 v76, 16, v106
	v_fma_f16 v6, v74, v6, -v71
	s_delay_alu instid0(VALU_DEP_3)
	v_mul_f16_e32 v57, v117, v114
	v_mul_f16_e32 v71, v29, v114
	s_wait_dscnt 0x6
	v_mul_f16_e32 v114, v67, v76
	s_wait_loadcnt 0x2
	v_lshrrev_b32_e32 v74, 16, v107
	v_fmac_f16_e32 v57, v29, v105
	v_mul_f16_e32 v29, v30, v76
	v_fmac_f16_e32 v114, v30, v106
	v_lshrrev_b32_e32 v30, 16, v108
	v_mul_f16_e32 v115, v123, v74
	v_fma_f16 v105, v117, v105, -v71
	v_fma_f16 v106, v67, v106, -v29
	v_mul_f16_e32 v29, v27, v74
	s_wait_dscnt 0x5
	v_mul_f16_e32 v116, v73, v30
	v_fmac_f16_e32 v115, v27, v107
	s_wait_loadcnt 0x1
	v_lshrrev_b32_e32 v67, 16, v109
	v_mul_f16_e32 v27, v28, v30
	v_fma_f16 v107, v123, v107, -v29
	v_fmac_f16_e32 v116, v28, v108
	v_lshrrev_b32_e32 v29, 16, v110
	v_mul_f16_e32 v117, v124, v67
	v_mul_f16_e32 v28, v23, v67
	v_fma_f16 v73, v73, v108, -v27
	v_add_f16_e32 v71, v77, v82
	s_wait_dscnt 0x4
	v_mul_f16_e32 v108, v78, v29
	v_fmac_f16_e32 v117, v23, v109
	v_fma_f16 v109, v124, v109, -v28
	v_mul_f16_e32 v27, v24, v29
	v_add_f16_e32 v29, v19, v80
	s_wait_loadcnt 0x0
	v_lshrrev_b32_e32 v23, 16, v111
	v_lshrrev_b32_e32 v28, 16, v112
	v_fmac_f16_e32 v108, v24, v110
	v_fma_f16 v110, v78, v110, -v27
	v_add_f16_e32 v74, v75, v113
	v_mul_f16_e32 v119, v125, v23
	v_mul_f16_e32 v23, v25, v23
	s_wait_dscnt 0x3
	v_mul_f16_e32 v120, v101, v28
	v_mul_f16_e32 v24, v26, v28
	v_add_f16_e32 v121, v57, v114
	v_fmac_f16_e32 v119, v25, v111
	v_fma_f16 v111, v125, v111, -v23
	v_add_f16_e32 v23, v118, v126
	v_fmac_f16_e32 v120, v26, v112
	v_add_f16_e32 v26, v88, v127
	v_fma_f16 v101, v101, v112, -v24
	v_add_f16_e32 v25, v21, v118
	v_fmac_f16_e32 v21, -0.5, v23
	v_sub_f16_e64 v23, v127, v128
	v_add_f16_e64 v112, v26, v128
	v_add_f16_e32 v26, v80, v81
	v_add_f16_e64 v24, v127, v128
	v_add_f16_e32 v28, v22, v95
	v_fmamk_f16 v27, v23, 0xbaee, v21
	v_fmac_f16_e32 v21, 0x3aee, v23
	v_add_f16_e32 v23, v95, v98
	v_fmac_f16_e32 v19, -0.5, v26
	v_add_f16_e32 v26, v89, v93
	v_fmac_f16_e32 v88, -0.5, v24
	v_add_f16_e32 v24, v25, v126
	v_sub_f16_e32 v25, v118, v126
	v_fmac_f16_e32 v22, -0.5, v23
	v_sub_f16_e32 v23, v100, v99
	v_sub_f16_e32 v30, v91, v90
	v_add_f16_e32 v67, v20, v89
	v_fmac_f16_e32 v20, -0.5, v26
	v_sub_f16_e32 v26, v97, v96
	v_add_f16_e32 v76, v18, v77
	v_fmac_f16_e32 v18, -0.5, v71
	;; [unrolled: 3-line block ×3, first 2 shown]
	v_sub_f16_e32 v74, v5, v6
	v_add_f16_e32 v122, v115, v116
	v_add_f16_e32 v123, v17, v57
	v_fmac_f16_e32 v17, -0.5, v121
	v_sub_f16_e32 v121, v105, v106
	v_fmamk_f16 v118, v25, 0x3aee, v88
	v_fmac_f16_e32 v88, 0xbaee, v25
	v_fmamk_f16 v25, v23, 0xbaee, v22
	v_fmac_f16_e32 v22, 0x3aee, v23
	;; [unrolled: 2-line block ×5, first 2 shown]
	v_fmamk_f16 v71, v74, 0xbaee, v14
	v_add_f16_e32 v124, v11, v115
	v_fmac_f16_e32 v11, -0.5, v122
	v_sub_f16_e32 v122, v107, v73
	v_fmac_f16_e32 v14, 0x3aee, v74
	v_fmamk_f16 v74, v121, 0xbaee, v17
	v_fmac_f16_e32 v17, 0x3aee, v121
	v_add_f16_e32 v121, v117, v108
	v_add_f16_e32 v126, v119, v120
	v_fmamk_f16 v125, v122, 0xbaee, v11
	v_fmac_f16_e32 v11, 0x3aee, v122
	v_add_f16_e32 v122, v10, v117
	v_fmac_f16_e32 v10, -0.5, v121
	v_sub_f16_e32 v121, v109, v110
	v_add_f16_e32 v127, v12, v119
	v_fmac_f16_e32 v12, -0.5, v126
	v_sub_f16_e32 v126, v111, v101
	v_sub_f16_e32 v77, v77, v82
	v_fma_f16 v128, 0xbaee, v121, v10
	v_fmac_f16_e32 v10, 0x3aee, v121
	s_delay_alu instid0(VALU_DEP_4)
	v_fmamk_f16 v121, v126, 0xbaee, v12
	v_fmac_f16_e32 v12, 0x3aee, v126
	ds_load_u16 v126, v46
	ds_load_u16 v129, v47
	;; [unrolled: 1-line block ×6, first 2 shown]
	global_wb scope:SCOPE_SE
	s_wait_dscnt 0x0
	s_barrier_signal -1
	s_barrier_wait -1
	global_inv scope:SCOPE_SE
	ds_store_b16 v60, v24
	ds_store_b16 v60, v27 offset:20
	ds_store_b16 v60, v21 offset:40
	v_add_f16_e32 v21, v28, v98
	v_lshlrev_b32_e32 v24, 1, v63
	v_mul_u32_u24_e32 v27, 60, v59
	v_lshlrev_b32_e32 v28, 1, v65
	ds_store_b16 v58, v21
	ds_store_b16 v58, v25 offset:20
	ds_store_b16 v58, v22 offset:40
	v_add_f16_e32 v21, v29, v81
	v_add3_u32 v59, 0, v27, v24
	v_lshlrev_b32_e32 v24, 1, v69
	v_mul_u32_u24_e32 v25, 60, v64
	v_add3_u32 v61, 0, v56, v28
	v_add_f16_e32 v22, v67, v93
	ds_store_b16 v59, v21
	ds_store_b16 v59, v23 offset:20
	ds_store_b16 v59, v19 offset:40
	ds_store_b16 v61, v22
	ds_store_b16 v61, v30 offset:20
	ds_store_b16 v61, v20 offset:40
	v_add3_u32 v62, 0, v25, v24
	v_add_f16_e32 v19, v76, v82
	v_lshlrev_b32_e32 v20, 1, v72
	v_mul_u32_u24_e32 v21, 60, v66
	ds_store_b16 v62, v19
	ds_store_b16 v62, v26 offset:20
	ds_store_b16 v62, v18 offset:40
	v_add_f16_e32 v18, v78, v113
	v_add3_u32 v63, 0, v21, v20
	ds_store_b16 v63, v18
	ds_store_b16 v63, v71 offset:20
	ds_store_b16 v63, v14 offset:40
	v_lshlrev_b32_e32 v18, 1, v85
	v_add_f16_e32 v85, v100, v99
	v_lshlrev_b32_e32 v22, 1, v83
	v_mul_u32_u24_e32 v23, 60, v70
	v_lshlrev_b32_e32 v19, 1, v86
	v_mul_u32_u24_e32 v20, 60, v68
	v_add_f16_e64 v86, v132, v100
	v_fmac_f16_e64 v132, -0.5, v85
	v_sub_f16_e32 v85, v95, v98
	v_add3_u32 v64, 0, v23, v22
	v_add_f16_e32 v21, v123, v114
	v_add3_u32 v72, 0, v20, v19
	v_mul_u32_u24_e32 v19, 60, v79
	v_add_f16_e32 v14, v124, v116
	v_lshlrev_b32_e32 v20, 1, v87
	v_mul_u32_u24_e32 v22, 60, v84
	v_add_f16_e32 v86, v86, v99
	v_fma_f16 v87, 0x3aee, v85, v132
	v_fmac_f16_e64 v132, 0xbaee, v85
	ds_store_b16 v64, v21
	ds_store_b16 v64, v74 offset:20
	ds_store_b16 v64, v17 offset:40
	v_add3_u32 v83, 0, v19, v18
	v_add_f16_e32 v17, v122, v108
	v_add_f16_e32 v18, v127, v120
	v_add3_u32 v84, 0, v22, v20
	ds_store_b16 v72, v14
	ds_store_b16 v72, v125 offset:20
	ds_store_b16 v72, v11 offset:40
	ds_store_b16 v83, v17
	ds_store_b16 v83, v128 offset:20
	ds_store_b16 v83, v10 offset:40
	ds_store_b16 v84, v18
	ds_store_b16 v84, v121 offset:20
	ds_store_b16 v84, v12 offset:40
	global_wb scope:SCOPE_SE
	s_wait_dscnt 0x0
	s_barrier_signal -1
	s_barrier_wait -1
	global_inv scope:SCOPE_SE
	ds_load_u16 v69, v42 offset:3564
	ds_load_u16 v67, v42 offset:3726
	;; [unrolled: 1-line block ×3, first 2 shown]
	ds_load_u16 v17, v45
	ds_load_u16 v19, v42
	ds_load_u16 v76, v42 offset:1620
	ds_load_u16 v74, v42 offset:1782
	;; [unrolled: 1-line block ×7, first 2 shown]
	ds_load_u16 v14, v46
	ds_load_u16 v10, v47
	;; [unrolled: 1-line block ×3, first 2 shown]
	ds_load_u16 v27, v42 offset:2754
	ds_load_u16 v25, v42 offset:2916
	;; [unrolled: 1-line block ×6, first 2 shown]
	ds_load_u16 v20, v50
	ds_load_u16 v22, v51
	;; [unrolled: 1-line block ×3, first 2 shown]
	ds_load_u16 v78, v42 offset:3402
	ds_load_u16 v79, v42 offset:3240
	;; [unrolled: 1-line block ×3, first 2 shown]
	ds_load_u16 v18, v44
	ds_load_u16 v21, v43
	ds_load_u16 v28, v42 offset:4698
	global_wb scope:SCOPE_SE
	s_wait_dscnt 0x0
	s_barrier_signal -1
	s_barrier_wait -1
	global_inv scope:SCOPE_SE
	ds_store_b16 v60, v112
	ds_store_b16 v60, v118 offset:20
	ds_store_b16 v60, v88 offset:40
	v_add_f16_e32 v60, v91, v90
	ds_store_b16 v58, v86
	ds_store_b16 v58, v87 offset:20
	ds_store_b16 v58, v132 offset:40
	v_add_f16_e32 v58, v97, v96
	v_add_f16_e64 v85, v131, v91
	v_add_f16_e32 v87, v103, v94
	v_fmac_f16_e64 v131, -0.5, v60
	v_sub_f16_e32 v60, v80, v81
	v_add_f16_e32 v80, v104, v97
	v_fmac_f16_e32 v104, -0.5, v58
	v_sub_f16_e32 v58, v89, v93
	v_add_f16_e32 v81, v85, v90
	v_fma_f16 v85, 0x3aee, v60, v131
	v_fmac_f16_e64 v131, 0xbaee, v60
	v_add_f16_e32 v60, v80, v96
	v_fmamk_f16 v86, v58, 0x3aee, v104
	v_fmac_f16_e32 v104, 0xbaee, v58
	v_add_f16_e32 v58, v5, v6
	v_add_f16_e32 v5, v102, v5
	;; [unrolled: 1-line block ×4, first 2 shown]
	v_add_f16_e64 v88, v130, v109
	v_fmac_f16_e32 v102, -0.5, v58
	v_add_f16_e32 v5, v5, v6
	v_add_f16_e32 v6, v105, v106
	v_fmac_f16_e32 v103, -0.5, v80
	v_sub_f16_e32 v58, v75, v113
	v_add_f16_e32 v75, v87, v92
	v_add_f16_e32 v82, v82, v106
	v_fmac_f16_e32 v126, -0.5, v6
	v_sub_f16_e32 v6, v57, v114
	v_add_f16_e64 v57, v129, v107
	v_fmamk_f16 v80, v77, 0x3aee, v103
	v_fmac_f16_e32 v103, 0xbaee, v77
	v_fmamk_f16 v77, v58, 0x3aee, v102
	v_fmac_f16_e32 v102, 0xbaee, v58
	v_add_f16_e32 v58, v107, v73
	v_fmamk_f16 v87, v6, 0x3aee, v126
	v_fmac_f16_e32 v126, 0xbaee, v6
	v_add_f16_e32 v6, v57, v73
	v_add_f16_e32 v57, v109, v110
	v_fmac_f16_e64 v129, -0.5, v58
	v_sub_f16_e32 v58, v115, v116
	v_add_f16_e64 v89, v133, v111
	ds_store_b16 v59, v81
	ds_store_b16 v59, v85 offset:20
	ds_store_b16 v59, v131 offset:40
	v_fmac_f16_e64 v130, -0.5, v57
	v_sub_f16_e32 v57, v117, v108
	v_fma_f16 v73, 0x3aee, v58, v129
	v_fmac_f16_e64 v129, 0xbaee, v58
	v_add_f16_e32 v58, v111, v101
	ds_store_b16 v61, v60
	ds_store_b16 v61, v86 offset:20
	ds_store_b16 v61, v104 offset:40
	ds_store_b16 v62, v75
	ds_store_b16 v62, v80 offset:20
	ds_store_b16 v62, v103 offset:40
	v_fma_f16 v90, 0x3aee, v57, v130
	v_fmac_f16_e64 v130, 0xbaee, v57
	v_mul_lo_u16 v57, v9, 30
	v_fmac_f16_e64 v133, -0.5, v58
	v_sub_f16_e32 v58, v119, v120
	ds_store_b16 v63, v5
	ds_store_b16 v63, v77 offset:20
	ds_store_b16 v63, v102 offset:40
	ds_store_b16 v64, v82
	ds_store_b16 v64, v87 offset:20
	ds_store_b16 v64, v126 offset:40
	;; [unrolled: 3-line block ×3, first 2 shown]
	v_sub_nc_u16 v5, v31, v57
	v_mul_lo_u16 v6, 0x89, v8
	v_fma_f16 v91, 0x3aee, v58, v133
	v_fmac_f16_e64 v133, 0xbaee, v58
	v_mul_lo_u16 v58, 0x89, v7
	v_and_b32_e32 v57, 0xff, v5
	v_lshrrev_b16 v8, 12, v6
	v_add_f16_e32 v88, v88, v110
	v_add_f16_e32 v89, v89, v101
	v_lshrrev_b16 v58, 12, v58
	v_lshlrev_b32_e32 v5, 3, v57
	v_mul_lo_u16 v6, v8, 30
	ds_store_b16 v83, v88
	ds_store_b16 v83, v90 offset:20
	ds_store_b16 v83, v130 offset:40
	ds_store_b16 v84, v89
	ds_store_b16 v84, v91 offset:20
	ds_store_b16 v84, v133 offset:40
	global_wb scope:SCOPE_SE
	s_wait_dscnt 0x0
	s_barrier_signal -1
	s_barrier_wait -1
	global_inv scope:SCOPE_SE
	global_load_b64 v[87:88], v5, s[8:9] offset:80
	v_sub_nc_u16 v5, v34, v6
	v_mul_lo_u16 v6, v58, 30
	v_mul_u32_u24_e32 v59, 0x8889, v13
	v_mul_u32_u24_e32 v83, 0x8889, v53
	;; [unrolled: 1-line block ×3, first 2 shown]
	v_and_b32_e32 v60, 0xff, v5
	v_sub_nc_u16 v5, v37, v6
	v_lshrrev_b32_e32 v59, 20, v59
	v_and_b32_e32 v9, 0xffff, v9
	v_lshlrev_b32_e32 v57, 1, v57
	v_lshlrev_b32_e32 v6, 3, v60
	v_and_b32_e32 v61, 0xff, v5
	v_mul_lo_u16 v5, v59, 30
	v_mul_u32_u24_e32 v9, 0xb4, v9
	v_and_b32_e32 v8, 0xffff, v8
	global_load_b64 v[89:90], v6, s[8:9] offset:80
	v_lshlrev_b32_e32 v63, 3, v61
	v_sub_nc_u16 v5, v32, v5
	v_add3_u32 v9, 0, v9, v57
	v_and_b32_e32 v57, 0xffff, v58
	v_lshlrev_b32_e32 v58, 1, v60
	global_load_b64 v[93:94], v63, s[8:9] offset:80
	v_mul_u32_u24_e32 v6, 0x8889, v16
	v_and_b32_e32 v63, 0xffff, v5
	v_mul_u32_u24_e32 v5, 0x8889, v15
	v_mul_u32_u24_e32 v8, 0xb4, v8
	v_lshlrev_b32_e32 v60, 1, v61
	v_lshrrev_b32_e32 v62, 20, v6
	v_lshlrev_b32_e32 v72, 3, v63
	v_lshrrev_b32_e32 v64, 20, v5
	v_mul_u32_u24_e32 v57, 0xb4, v57
	v_add3_u32 v8, 0, v8, v58
	v_mul_lo_u16 v6, v62, 30
	global_load_b64 v[106:107], v72, s[8:9] offset:80
	v_lshlrev_b32_e32 v58, 1, v63
	v_mul_u32_u24_e32 v59, 0xb4, v59
	v_add3_u32 v132, 0, v57, v60
	v_sub_nc_u16 v5, v35, v6
	v_mul_lo_u16 v6, v64, 30
	v_mul_u32_u24_e32 v16, 0x2d83, v16
	v_mul_u32_u24_e32 v15, 0x2d83, v15
	s_delay_alu instid0(VALU_DEP_4) | instskip(NEXT) | instid1(VALU_DEP_4)
	v_and_b32_e32 v75, 0xffff, v5
	v_sub_nc_u16 v5, v39, v6
	s_delay_alu instid0(VALU_DEP_2) | instskip(NEXT) | instid1(VALU_DEP_2)
	v_lshlrev_b32_e32 v6, 3, v75
	v_and_b32_e32 v77, 0xffff, v5
	v_mul_u32_u24_e32 v5, 0x8889, v52
	s_delay_alu instid0(VALU_DEP_1) | instskip(NEXT) | instid1(VALU_DEP_1)
	v_lshrrev_b32_e32 v73, 20, v5
	v_mul_lo_u16 v81, v73, 30
	s_delay_alu instid0(VALU_DEP_1) | instskip(NEXT) | instid1(VALU_DEP_1)
	v_sub_nc_u16 v81, v36, v81
	v_and_b32_e32 v81, 0xffff, v81
	s_delay_alu instid0(VALU_DEP_1)
	v_lshlrev_b32_e32 v86, 3, v81
	s_clause 0x1
	global_load_b64 v[112:113], v86, s[8:9] offset:80
	global_load_b64 v[108:109], v6, s[8:9] offset:80
	v_mul_u32_u24_e32 v72, 0x8889, v55
	v_lshlrev_b32_e32 v6, 3, v77
	s_delay_alu instid0(VALU_DEP_2) | instskip(SKIP_2) | instid1(VALU_DEP_1)
	v_lshrrev_b32_e32 v72, 20, v72
	global_load_b64 v[5:6], v6, s[8:9] offset:80
	v_mul_lo_u16 v80, v72, 30
	v_sub_nc_u16 v80, v33, v80
	s_delay_alu instid0(VALU_DEP_1) | instskip(SKIP_1) | instid1(VALU_DEP_2)
	v_and_b32_e32 v82, 0xffff, v80
	v_lshrrev_b32_e32 v80, 20, v83
	v_lshlrev_b32_e32 v83, 3, v82
	s_delay_alu instid0(VALU_DEP_2) | instskip(SKIP_2) | instid1(VALU_DEP_1)
	v_mul_lo_u16 v84, v80, 30
	global_load_b64 v[110:111], v83, s[8:9] offset:80
	v_sub_nc_u16 v84, v40, v84
	v_and_b32_e32 v84, 0xffff, v84
	s_delay_alu instid0(VALU_DEP_1) | instskip(SKIP_2) | instid1(VALU_DEP_1)
	v_lshlrev_b32_e32 v86, 3, v84
	global_load_b64 v[114:115], v86, s[8:9] offset:80
	v_lshrrev_b32_e32 v83, 20, v85
	v_mul_lo_u16 v85, v83, 30
	v_mul_u32_u24_e32 v60, 0xb4, v83
	s_delay_alu instid0(VALU_DEP_2) | instskip(NEXT) | instid1(VALU_DEP_1)
	v_sub_nc_u16 v85, v38, v85
	v_and_b32_e32 v85, 0xffff, v85
	s_delay_alu instid0(VALU_DEP_1)
	v_lshlrev_b32_e32 v86, 3, v85
	global_load_b64 v[116:117], v86, s[8:9] offset:80
	ds_load_u16 v91, v42 offset:1620
	ds_load_u16 v92, v42 offset:3240
	;; [unrolled: 1-line block ×8, first 2 shown]
	ds_load_u16 v86, v42
	ds_load_u16 v98, v42 offset:3402
	ds_load_u16 v101, v42 offset:3564
	ds_load_u16 v122, v42 offset:3726
	ds_load_u16 v123, v42 offset:3888
	ds_load_u16 v124, v42 offset:2754
	ds_load_u16 v125, v42 offset:2916
	ds_load_u16 v126, v42 offset:3078
	s_wait_loadcnt 0x9
	v_lshrrev_b32_e32 v95, 16, v87
	v_lshrrev_b32_e32 v100, 16, v88
	s_wait_dscnt 0xf
	s_delay_alu instid0(VALU_DEP_2)
	v_mul_f16_e32 v121, v91, v95
	v_mul_f16_e32 v95, v76, v95
	s_wait_dscnt 0xe
	v_mul_f16_e32 v127, v92, v100
	v_mul_f16_e32 v102, v79, v100
	v_fmac_f16_e32 v121, v76, v87
	v_fma_f16 v87, v91, v87, -v95
	s_delay_alu instid0(VALU_DEP_4) | instskip(NEXT) | instid1(VALU_DEP_4)
	v_fmac_f16_e32 v127, v79, v88
	v_fma_f16 v88, v92, v88, -v102
	s_wait_loadcnt 0x8
	v_lshrrev_b32_e32 v76, 16, v89
	v_lshrrev_b32_e32 v79, 16, v90
	s_wait_dscnt 0xd
	s_delay_alu instid0(VALU_DEP_2)
	v_mul_f16_e32 v100, v96, v76
	v_mul_f16_e32 v76, v74, v76
	s_wait_loadcnt 0x7
	v_lshrrev_b32_e32 v91, 16, v93
	s_wait_dscnt 0x6
	v_mul_f16_e32 v103, v98, v79
	v_fmac_f16_e32 v100, v74, v89
	v_mul_f16_e32 v74, v78, v79
	v_fma_f16 v105, v96, v89, -v76
	v_mul_f16_e32 v76, v97, v91
	v_fmac_f16_e32 v103, v78, v90
	v_lshrrev_b32_e32 v78, 16, v94
	v_fma_f16 v104, v98, v90, -v74
	v_mul_f16_e32 v74, v71, v91
	v_fmac_f16_e32 v76, v71, v93
	s_wait_loadcnt 0x6
	v_lshrrev_b32_e32 v71, 16, v106
	s_wait_dscnt 0x5
	v_mul_f16_e32 v91, v101, v78
	v_mul_f16_e32 v78, v69, v78
	v_fma_f16 v96, v97, v93, -v74
	v_lshrrev_b32_e32 v74, 16, v107
	v_mul_f16_e32 v93, v99, v71
	v_fmac_f16_e32 v91, v69, v94
	v_mul_f16_e32 v69, v70, v71
	v_fma_f16 v94, v101, v94, -v78
	s_wait_dscnt 0x4
	v_mul_f16_e32 v98, v122, v74
	v_fmac_f16_e32 v93, v70, v106
	v_mul_f16_e32 v70, v67, v74
	v_fma_f16 v102, v99, v106, -v69
	ds_load_u16 v69, v42 offset:4050
	v_fmac_f16_e32 v98, v67, v107
	v_fma_f16 v101, v122, v107, -v70
	s_wait_loadcnt 0x4
	v_lshrrev_b32_e32 v67, 16, v109
	v_lshrrev_b32_e32 v71, 16, v108
	s_wait_dscnt 0x4
	s_delay_alu instid0(VALU_DEP_2) | instskip(SKIP_1) | instid1(VALU_DEP_3)
	v_mul_f16_e32 v92, v123, v67
	v_mul_f16_e32 v67, v65, v67
	;; [unrolled: 1-line block ×4, first 2 shown]
	s_wait_loadcnt 0x3
	v_lshrrev_b32_e32 v71, 16, v5
	v_fmac_f16_e32 v92, v65, v109
	ds_load_u16 v65, v42 offset:4212
	v_fmac_f16_e32 v90, v68, v108
	v_fma_f16 v97, v123, v109, -v67
	v_mul_f16_e32 v95, v119, v71
	v_lshrrev_b32_e32 v67, 16, v6
	v_mul_f16_e32 v68, v66, v71
	v_fma_f16 v99, v118, v108, -v70
	v_add_f16_e32 v78, v90, v92
	v_fmac_f16_e32 v95, v66, v5
	ds_load_u16 v66, v42 offset:4374
	ds_load_u16 v70, v42 offset:4536
	;; [unrolled: 1-line block ×3, first 2 shown]
	ds_load_u16 v106, v45
	ds_load_u16 v107, v44
	;; [unrolled: 1-line block ×3, first 2 shown]
	s_wait_dscnt 0x7
	v_mul_f16_e32 v109, v69, v67
	v_mul_f16_e32 v67, v56, v67
	v_fma_f16 v5, v119, v5, -v68
	s_delay_alu instid0(VALU_DEP_3) | instskip(NEXT) | instid1(VALU_DEP_3)
	v_fmac_f16_e32 v109, v56, v6
	v_fma_f16 v6, v69, v6, -v67
	v_lshrrev_b32_e32 v67, 16, v112
	s_wait_loadcnt 0x2
	v_lshrrev_b32_e32 v74, 16, v110
	v_lshrrev_b32_e32 v68, 16, v111
	v_add_f16_e32 v79, v95, v109
	s_delay_alu instid0(VALU_DEP_3)
	v_mul_f16_e32 v118, v120, v74
	v_mul_f16_e32 v56, v29, v74
	s_wait_dscnt 0x6
	v_mul_f16_e32 v119, v65, v68
	v_add_f16_e32 v74, v21, v93
	v_fmac_f16_e32 v118, v29, v110
	v_mul_f16_e32 v29, v30, v68
	v_fma_f16 v110, v120, v110, -v56
	v_fmac_f16_e32 v119, v30, v111
	v_mul_f16_e32 v30, v124, v67
	v_lshrrev_b32_e32 v56, 16, v113
	v_mul_f16_e32 v67, v27, v67
	v_fma_f16 v29, v65, v111, -v29
	s_wait_loadcnt 0x1
	v_lshrrev_b32_e32 v65, 16, v114
	v_fmac_f16_e32 v30, v27, v112
	s_wait_dscnt 0x5
	v_mul_f16_e32 v27, v66, v56
	v_fma_f16 v111, v124, v112, -v67
	v_mul_f16_e32 v56, v26, v56
	v_mul_f16_e32 v112, v125, v65
	v_lshrrev_b32_e32 v67, 16, v115
	v_fmac_f16_e32 v27, v26, v113
	v_mul_f16_e32 v26, v25, v65
	v_fma_f16 v113, v66, v113, -v56
	v_fmac_f16_e32 v112, v25, v114
	s_wait_dscnt 0x4
	v_mul_f16_e32 v25, v70, v67
	v_mul_f16_e32 v65, v23, v67
	v_fma_f16 v26, v125, v114, -v26
	v_sub_f16_e32 v67, v87, v88
	v_add_f16_e32 v89, v118, v119
	v_fmac_f16_e32 v25, v23, v115
	v_fma_f16 v114, v70, v115, -v65
	v_add_f16_e32 v70, v93, v98
	v_sub_f16_e32 v68, v121, v127
	v_add_f16_e32 v120, v30, v27
	v_add_f16_e32 v122, v10, v30
	s_delay_alu instid0(VALU_DEP_4)
	v_fmac_f16_e32 v21, -0.5, v70
	s_wait_loadcnt 0x0
	v_lshrrev_b32_e32 v56, 16, v116
	v_lshrrev_b32_e32 v66, 16, v117
	v_sub_f16_e32 v70, v102, v101
	v_fmac_f16_e32 v10, -0.5, v120
	v_sub_f16_e32 v120, v111, v113
	v_mul_f16_e32 v23, v126, v56
	v_mul_f16_e32 v56, v24, v56
	s_wait_dscnt 0x3
	v_mul_f16_e32 v115, v71, v66
	v_mul_f16_e32 v65, v28, v66
	v_add_f16_e32 v66, v19, v121
	v_fmac_f16_e32 v23, v24, v116
	v_fma_f16 v24, v126, v116, -v56
	v_add_f16_e32 v56, v121, v127
	v_fmac_f16_e32 v115, v28, v117
	v_fma_f16 v28, v71, v117, -v65
	v_add_f16_e32 v65, v87, v88
	v_add_f16_e32 v71, v20, v76
	v_fmac_f16_e32 v19, -0.5, v56
	v_add_f16_e32 v56, v86, v87
	v_add_f16_e32 v87, v18, v90
	v_fmac_f16_e32 v86, -0.5, v65
	v_add_f16_e32 v65, v66, v127
	v_add_f16_e32 v66, v100, v103
	;; [unrolled: 1-line block ×4, first 2 shown]
	v_fmamk_f16 v69, v67, 0xbaee, v19
	v_fmac_f16_e32 v19, 0x3aee, v67
	v_add_f16_e32 v67, v22, v100
	v_fmac_f16_e32 v22, -0.5, v66
	v_sub_f16_e32 v66, v105, v104
	v_fmac_f16_e32 v20, -0.5, v56
	v_sub_f16_e32 v56, v96, v94
	;; [unrolled: 2-line block ×3, first 2 shown]
	v_add_f16_e32 v88, v17, v95
	v_fmac_f16_e32 v17, -0.5, v79
	v_sub_f16_e32 v79, v5, v6
	v_add_f16_e32 v121, v14, v118
	v_fmac_f16_e32 v14, -0.5, v89
	v_sub_f16_e32 v89, v110, v29
	v_fmamk_f16 v117, v68, 0x3aee, v86
	v_fmac_f16_e32 v86, 0xbaee, v68
	v_fmamk_f16 v68, v66, 0xbaee, v22
	v_fmac_f16_e32 v22, 0x3aee, v66
	;; [unrolled: 2-line block ×7, first 2 shown]
	v_add_f16_e32 v89, v112, v25
	v_add_f16_e32 v124, v23, v115
	v_fmamk_f16 v123, v120, 0xbaee, v10
	v_fmac_f16_e32 v10, 0x3aee, v120
	v_add_f16_e32 v120, v11, v112
	v_fmac_f16_e32 v11, -0.5, v89
	v_sub_f16_e32 v89, v26, v114
	v_add_f16_e32 v125, v12, v23
	v_fmac_f16_e32 v12, -0.5, v124
	v_sub_f16_e32 v124, v24, v28
	v_add_f16_e32 v57, v71, v91
	v_fmamk_f16 v126, v89, 0xbaee, v11
	v_fmac_f16_e32 v11, 0x3aee, v89
	s_delay_alu instid0(VALU_DEP_4)
	v_fmamk_f16 v89, v124, 0xbaee, v12
	v_fmac_f16_e32 v12, 0x3aee, v124
	ds_load_u16 v124, v46
	ds_load_u16 v127, v47
	;; [unrolled: 1-line block ×6, first 2 shown]
	global_wb scope:SCOPE_SE
	s_wait_dscnt 0x0
	s_barrier_signal -1
	s_barrier_wait -1
	global_inv scope:SCOPE_SE
	ds_store_b16 v9, v65
	ds_store_b16 v9, v69 offset:60
	ds_store_b16 v9, v19 offset:120
	v_add_f16_e32 v19, v67, v103
	ds_store_b16 v8, v19
	ds_store_b16 v8, v68 offset:60
	ds_store_b16 v8, v22 offset:120
	ds_store_b16 v132, v57
	ds_store_b16 v132, v66 offset:60
	ds_store_b16 v132, v20 offset:120
	v_add3_u32 v19, 0, v59, v58
	v_add_f16_e32 v20, v74, v98
	v_lshlrev_b32_e32 v22, 1, v75
	v_mul_u32_u24_e32 v57, 0xb4, v62
	v_lshlrev_b32_e32 v58, 1, v77
	v_mul_u32_u24_e32 v59, 0xb4, v64
	ds_store_b16 v19, v20
	ds_store_b16 v19, v56 offset:60
	ds_store_b16 v19, v21 offset:120
	v_add_f16_e32 v21, v87, v92
	v_add3_u32 v20, 0, v57, v22
	v_lshlrev_b32_e32 v56, 1, v82
	v_mul_u32_u24_e32 v57, 0xb4, v72
	v_add3_u32 v22, 0, v59, v58
	v_add_f16_e32 v58, v88, v109
	ds_store_b16 v20, v21
	ds_store_b16 v20, v70 offset:60
	ds_store_b16 v20, v18 offset:120
	v_lshlrev_b32_e32 v21, 1, v81
	v_add3_u32 v18, 0, v57, v56
	v_mul_u32_u24_e32 v56, 0xb4, v73
	v_add_f16_e32 v57, v121, v119
	ds_store_b16 v22, v58
	ds_store_b16 v22, v78 offset:60
	ds_store_b16 v22, v17 offset:120
	v_mul_u32_u24_e32 v58, 0xb4, v80
	v_lshlrev_b32_e32 v59, 1, v85
	v_add3_u32 v17, 0, v56, v21
	v_lshlrev_b32_e32 v56, 1, v84
	v_add_f16_e32 v21, v122, v27
	ds_store_b16 v18, v57
	ds_store_b16 v18, v79 offset:60
	ds_store_b16 v18, v14 offset:120
	v_add3_u32 v82, 0, v60, v59
	v_add_f16_e32 v57, v125, v115
	v_add3_u32 v14, 0, v58, v56
	v_add_f16_e32 v56, v120, v25
	ds_store_b16 v17, v21
	ds_store_b16 v17, v123 offset:60
	ds_store_b16 v17, v10 offset:120
	ds_store_b16 v14, v56
	ds_store_b16 v14, v126 offset:60
	ds_store_b16 v14, v11 offset:120
	;; [unrolled: 3-line block ×3, first 2 shown]
	v_add_f16_e32 v10, v105, v104
	v_add_f16_e64 v11, v130, v105
	global_wb scope:SCOPE_SE
	s_wait_dscnt 0x0
	s_barrier_signal -1
	s_barrier_wait -1
	v_fmac_f16_e64 v130, -0.5, v10
	v_sub_f16_e32 v10, v100, v103
	v_add_f16_e32 v11, v11, v104
	global_inv scope:SCOPE_SE
	ds_load_u16 v80, v42 offset:3564
	ds_load_u16 v78, v42 offset:3726
	;; [unrolled: 1-line block ×3, first 2 shown]
	ds_load_u16 v60, v45
	ds_load_u16 v61, v42
	ds_load_u16 v87, v42 offset:1620
	ds_load_u16 v85, v42 offset:1782
	;; [unrolled: 1-line block ×7, first 2 shown]
	ds_load_u16 v59, v46
	ds_load_u16 v56, v47
	;; [unrolled: 1-line block ×3, first 2 shown]
	ds_load_u16 v71, v42 offset:2754
	ds_load_u16 v68, v42 offset:2916
	;; [unrolled: 1-line block ×6, first 2 shown]
	ds_load_u16 v64, v50
	ds_load_u16 v65, v51
	;; [unrolled: 1-line block ×3, first 2 shown]
	ds_load_u16 v88, v42 offset:3402
	ds_load_u16 v89, v42 offset:3240
	;; [unrolled: 1-line block ×3, first 2 shown]
	ds_load_u16 v62, v44
	ds_load_u16 v63, v43
	ds_load_u16 v70, v42 offset:4698
	v_fma_f16 v12, 0x3aee, v10, v130
	v_fmac_f16_e64 v130, 0xbaee, v10
	global_wb scope:SCOPE_SE
	s_wait_dscnt 0x0
	s_barrier_signal -1
	s_barrier_wait -1
	global_inv scope:SCOPE_SE
	ds_store_b16 v9, v116
	ds_store_b16 v9, v117 offset:60
	ds_store_b16 v9, v86 offset:120
	v_add_f16_e32 v9, v96, v94
	ds_store_b16 v8, v11
	ds_store_b16 v8, v12 offset:60
	ds_store_b16 v8, v130 offset:120
	v_add_f16_e32 v8, v102, v101
	v_add_f16_e64 v10, v129, v96
	v_add_f16_e32 v11, v108, v102
	v_fmac_f16_e64 v129, -0.5, v9
	v_sub_f16_e32 v9, v76, v91
	v_fmac_f16_e32 v108, -0.5, v8
	v_sub_f16_e32 v8, v93, v98
	v_add_f16_e32 v76, v107, v99
	v_add_f16_e32 v86, v124, v110
	v_fma_f16 v12, 0x3aee, v9, v129
	v_fmac_f16_e64 v129, 0xbaee, v9
	v_add_f16_e32 v9, v11, v101
	v_add_f16_e32 v11, v99, v97
	v_fmamk_f16 v21, v8, 0x3aee, v108
	v_fmac_f16_e32 v108, 0xbaee, v8
	v_add_f16_e32 v8, v5, v6
	v_add_f16_e32 v5, v106, v5
	v_fmac_f16_e32 v107, -0.5, v11
	v_sub_f16_e32 v11, v90, v92
	v_add_f16_e32 v90, v127, v111
	v_fmac_f16_e32 v106, -0.5, v8
	v_sub_f16_e32 v8, v95, v109
	v_add_f16_e32 v5, v5, v6
	v_fmamk_f16 v84, v11, 0x3aee, v107
	v_fmac_f16_e32 v107, 0xbaee, v11
	v_add_f16_e32 v6, v110, v29
	v_fmamk_f16 v11, v8, 0x3aee, v106
	v_fmac_f16_e32 v106, 0xbaee, v8
	v_add_f16_e32 v8, v111, v113
	v_add_f16_e32 v10, v10, v94
	v_fmac_f16_e32 v124, -0.5, v6
	v_sub_f16_e32 v6, v118, v119
	v_add_f16_e32 v76, v76, v97
	v_fmac_f16_e32 v127, -0.5, v8
	v_sub_f16_e32 v8, v30, v27
	v_add_f16_e32 v27, v86, v29
	v_fmamk_f16 v29, v6, 0x3aee, v124
	v_fmac_f16_e32 v124, 0xbaee, v6
	v_add_f16_e32 v6, v26, v114
	v_fmamk_f16 v86, v8, 0x3aee, v127
	v_fmac_f16_e32 v127, 0xbaee, v8
	v_add_f16_e32 v8, v24, v28
	v_add_f16_e64 v26, v128, v26
	v_add_f16_e64 v24, v131, v24
	v_fmac_f16_e64 v128, -0.5, v6
	v_sub_f16_e32 v6, v112, v25
	v_fmac_f16_e64 v131, -0.5, v8
	v_sub_f16_e32 v8, v23, v115
	v_add_f16_e32 v23, v26, v114
	v_add_f16_e32 v30, v90, v113
	v_fma_f16 v25, 0x3aee, v6, v128
	v_fmac_f16_e64 v128, 0xbaee, v6
	v_fma_f16 v26, 0x3aee, v8, v131
	v_fmac_f16_e64 v131, 0xbaee, v8
	v_add_nc_u32_e32 v8, -9, v31
	v_mov_b32_e32 v6, 0
	ds_store_b16 v132, v10
	ds_store_b16 v132, v12 offset:60
	ds_store_b16 v132, v129 offset:120
	ds_store_b16 v19, v9
	ds_store_b16 v19, v21 offset:60
	ds_store_b16 v19, v108 offset:120
	;; [unrolled: 3-line block ×4, first 2 shown]
	v_lshlrev_b32_e32 v5, 1, v31
	v_add_f16_e32 v24, v24, v28
	s_wait_alu 0xf1ff
	v_cndmask_b32_e64 v8, v8, v34, s0
	ds_store_b16 v18, v27
	ds_store_b16 v18, v29 offset:60
	ds_store_b16 v18, v124 offset:120
	ds_store_b16 v17, v30
	ds_store_b16 v17, v86 offset:60
	ds_store_b16 v17, v127 offset:120
	;; [unrolled: 3-line block ×4, first 2 shown]
	v_dual_mov_b32 v10, v6 :: v_dual_lshlrev_b32 v9, 1, v8
	v_mul_lo_u16 v14, 0xb7, v7
	v_lshlrev_b64_e32 v[11:12], 2, v[5:6]
	v_lshrrev_b32_e32 v84, 20, v16
	v_lshrrev_b32_e32 v90, 20, v15
	v_lshlrev_b64_e32 v[17:18], 2, v[9:10]
	v_lshrrev_b16 v76, 14, v14
	v_mul_u32_u24_e32 v10, 0x2d83, v13
	v_add_co_u32 v7, s0, s8, v11
	s_wait_alu 0xf1ff
	v_add_co_ci_u32_e64 v8, s0, s9, v12, s0
	v_mul_lo_u16 v19, 0x5a, v76
	v_lshrrev_b32_e32 v10, 20, v10
	v_mul_lo_u16 v16, 0x5a, v84
	v_add_co_u32 v13, s0, s8, v17
	global_wb scope:SCOPE_SE
	s_wait_dscnt 0x0
	s_barrier_signal -1
	s_barrier_wait -1
	global_inv scope:SCOPE_SE
	global_load_b64 v[11:12], v[7:8], off offset:320
	s_wait_alu 0xf1ff
	v_add_co_ci_u32_e64 v14, s0, s9, v18, s0
	v_sub_nc_u16 v17, v37, v19
	v_mul_lo_u16 v18, 0x5a, v10
	v_sub_nc_u16 v15, v35, v16
	v_mul_lo_u16 v16, 0x5a, v90
	global_load_b64 v[13:14], v[13:14], off offset:320
	v_and_b32_e32 v82, 0xff, v17
	v_sub_nc_u16 v17, v32, v18
	v_and_b32_e32 v91, 0xffff, v15
	v_sub_nc_u16 v15, v39, v16
	v_mul_u32_u24_e32 v23, 0x2d83, v53
	v_lshlrev_b32_e32 v18, 3, v82
	v_and_b32_e32 v86, 0xffff, v17
	v_lshlrev_b32_e32 v16, 3, v91
	v_and_b32_e32 v93, 0xffff, v15
	v_lshrrev_b32_e32 v95, 20, v23
	global_load_b64 v[21:22], v18, s[8:9] offset:320
	v_lshlrev_b32_e32 v17, 3, v86
	global_load_b64 v[29:30], v16, s[8:9] offset:320
	v_lshlrev_b32_e32 v15, 3, v93
	v_mul_u32_u24_e32 v23, 0x2d83, v54
	v_cmp_lt_u32_e64 s0, 8, v31
	global_load_b64 v[19:20], v17, s[8:9] offset:320
	v_lshlrev_b32_e32 v82, 1, v82
	global_load_b64 v[15:16], v15, s[8:9] offset:320
	v_mul_u32_u24_e32 v17, 0x2d83, v55
	v_lshrrev_b32_e32 v23, 20, v23
	v_mul_u32_u24_e32 v10, 0x21c, v10
	v_mul_u32_u24_e32 v53, 0x795d, v53
	;; [unrolled: 1-line block ×3, first 2 shown]
	v_lshrrev_b32_e32 v92, 20, v17
	v_mul_u32_u24_e32 v17, 0x2d83, v52
	v_mul_u32_u24_e32 v52, 0x795d, v52
	v_lshrrev_b32_e32 v53, 23, v53
	s_delay_alu instid0(VALU_DEP_4) | instskip(NEXT) | instid1(VALU_DEP_4)
	v_mul_lo_u16 v18, 0x5a, v92
	v_lshrrev_b32_e32 v94, 20, v17
	s_delay_alu instid0(VALU_DEP_2) | instskip(NEXT) | instid1(VALU_DEP_2)
	v_sub_nc_u16 v17, v33, v18
	v_mul_lo_u16 v18, 0x5a, v94
	s_delay_alu instid0(VALU_DEP_2) | instskip(NEXT) | instid1(VALU_DEP_2)
	v_and_b32_e32 v96, 0xffff, v17
	v_sub_nc_u16 v17, v36, v18
	s_delay_alu instid0(VALU_DEP_2) | instskip(NEXT) | instid1(VALU_DEP_2)
	v_lshlrev_b32_e32 v18, 3, v96
	v_and_b32_e32 v97, 0xffff, v17
	v_mul_lo_u16 v17, 0x5a, v95
	global_load_b64 v[27:28], v18, s[8:9] offset:320
	v_lshlrev_b32_e32 v18, 3, v97
	v_sub_nc_u16 v17, v40, v17
	global_load_b64 v[25:26], v18, s[8:9] offset:320
	v_and_b32_e32 v99, 0xffff, v17
	v_mul_lo_u16 v17, 0x5a, v23
	s_delay_alu instid0(VALU_DEP_2) | instskip(NEXT) | instid1(VALU_DEP_2)
	v_lshlrev_b32_e32 v18, 3, v99
	v_sub_nc_u16 v17, v38, v17
	global_load_b64 v[23:24], v18, s[8:9] offset:320
	v_and_b32_e32 v98, 0xffff, v17
	s_delay_alu instid0(VALU_DEP_1)
	v_lshlrev_b32_e32 v17, 3, v98
	global_load_b64 v[17:18], v17, s[8:9] offset:320
	ds_load_u16 v100, v42 offset:1620
	ds_load_u16 v101, v42 offset:3240
	;; [unrolled: 1-line block ×8, first 2 shown]
	ds_load_u16 v109, v42
	ds_load_u16 v110, v42 offset:3402
	ds_load_u16 v113, v42 offset:3564
	;; [unrolled: 1-line block ×5, first 2 shown]
	s_wait_loadcnt 0x9
	v_lshrrev_b32_e32 v102, 16, v11
	v_lshrrev_b32_e32 v112, 16, v12
	s_wait_dscnt 0xd
	s_delay_alu instid0(VALU_DEP_2)
	v_mul_f16_e32 v111, v100, v102
	v_mul_f16_e32 v102, v87, v102
	s_wait_dscnt 0xc
	v_mul_f16_e32 v117, v101, v112
	v_mul_f16_e32 v112, v89, v112
	v_fmac_f16_e32 v111, v87, v11
	s_wait_loadcnt 0x8
	v_lshrrev_b32_e32 v87, 16, v13
	v_fma_f16 v11, v100, v11, -v102
	v_lshrrev_b32_e32 v100, 16, v14
	v_fmac_f16_e32 v117, v89, v12
	v_fma_f16 v12, v101, v12, -v112
	s_wait_dscnt 0xb
	v_mul_f16_e32 v102, v103, v87
	v_mul_f16_e32 v87, v85, v87
	s_wait_dscnt 0x4
	v_mul_f16_e32 v89, v110, v100
	s_wait_loadcnt 0x7
	v_lshrrev_b32_e32 v101, 16, v21
	v_fmac_f16_e32 v102, v85, v13
	v_mul_f16_e32 v85, v88, v100
	v_fma_f16 v13, v103, v13, -v87
	v_fmac_f16_e32 v89, v88, v14
	v_mul_f16_e32 v87, v104, v101
	v_lshrrev_b32_e32 v88, 16, v22
	v_mul_f16_e32 v100, v83, v101
	v_fma_f16 v14, v110, v14, -v85
	s_wait_loadcnt 0x5
	v_lshrrev_b32_e32 v85, 16, v19
	v_fmac_f16_e32 v87, v83, v21
	s_wait_dscnt 0x3
	v_mul_f16_e32 v83, v113, v88
	v_fma_f16 v100, v104, v21, -v100
	v_mul_f16_e32 v21, v80, v88
	v_mul_f16_e32 v88, v105, v85
	v_lshrrev_b32_e32 v101, 16, v20
	v_fmac_f16_e32 v83, v80, v22
	v_mul_f16_e32 v80, v81, v85
	v_fma_f16 v85, v113, v22, -v21
	v_fmac_f16_e32 v88, v81, v19
	v_lshrrev_b32_e32 v22, 16, v30
	s_wait_dscnt 0x2
	v_mul_f16_e32 v81, v114, v101
	v_fma_f16 v80, v105, v19, -v80
	v_mul_f16_e32 v19, v78, v101
	v_lshrrev_b32_e32 v21, 16, v29
	ds_load_u16 v101, v42 offset:4050
	s_wait_dscnt 0x2
	v_mul_f16_e32 v104, v115, v22
	v_fmac_f16_e32 v81, v78, v20
	v_fma_f16 v103, v114, v20, -v19
	s_wait_loadcnt 0x4
	v_lshrrev_b32_e32 v19, 16, v15
	v_mul_f16_e32 v78, v106, v21
	v_mul_f16_e32 v21, v79, v21
	;; [unrolled: 1-line block ×3, first 2 shown]
	v_fmac_f16_e32 v104, v77, v30
	v_mul_f16_e32 v77, v107, v19
	v_mul_f16_e32 v19, v74, v19
	v_fmac_f16_e32 v78, v79, v29
	v_fma_f16 v79, v106, v29, -v21
	v_fma_f16 v105, v115, v30, -v20
	ds_load_u16 v20, v42 offset:4212
	ds_load_u16 v22, v42 offset:2754
	;; [unrolled: 1-line block ×5, first 2 shown]
	ds_load_u16 v110, v45
	ds_load_u16 v112, v44
	;; [unrolled: 1-line block ×3, first 2 shown]
	v_fma_f16 v107, v107, v15, -v19
	ds_load_u16 v19, v42 offset:2916
	ds_load_u16 v124, v51
	v_lshrrev_b32_e32 v21, 16, v16
	v_fmac_f16_e32 v77, v74, v15
	s_wait_loadcnt 0x3
	v_lshrrev_b32_e32 v15, 16, v28
	v_lshrrev_b32_e32 v74, 16, v27
	s_wait_dscnt 0xa
	v_mul_f16_e32 v114, v101, v21
	v_mul_f16_e32 v21, v75, v21
	s_wait_dscnt 0x9
	v_mul_f16_e32 v115, v20, v15
	v_mul_f16_e32 v15, v73, v15
	v_fmac_f16_e32 v114, v75, v16
	v_mul_f16_e32 v75, v108, v74
	v_mul_f16_e32 v74, v72, v74
	v_fma_f16 v101, v101, v16, -v21
	s_wait_loadcnt 0x2
	v_lshrrev_b32_e32 v16, 16, v25
	v_fmac_f16_e32 v115, v73, v28
	v_fma_f16 v73, v20, v28, -v15
	s_wait_loadcnt 0x1
	v_lshrrev_b32_e32 v15, 16, v23
	v_fmac_f16_e32 v75, v72, v27
	v_fma_f16 v72, v108, v27, -v74
	s_wait_dscnt 0x8
	v_mul_f16_e32 v74, v22, v16
	v_mul_f16_e32 v16, v71, v16
	v_lshrrev_b32_e32 v21, 16, v26
	s_wait_dscnt 0x1
	v_mul_f16_e32 v118, v19, v15
	v_mul_f16_e32 v15, v68, v15
	v_fmac_f16_e32 v74, v71, v25
	v_fma_f16 v71, v22, v25, -v16
	v_mul_f16_e32 v108, v29, v21
	v_mul_f16_e32 v16, v69, v21
	v_fma_f16 v120, v19, v23, -v15
	s_wait_loadcnt 0x0
	v_lshrrev_b32_e32 v15, 16, v18
	v_lshrrev_b32_e32 v20, 16, v24
	v_fmac_f16_e32 v108, v69, v26
	v_fma_f16 v69, v29, v26, -v16
	v_lshrrev_b32_e32 v16, 16, v17
	v_mul_f16_e32 v123, v106, v15
	v_mul_f16_e32 v15, v70, v15
	s_wait_alu 0xf1ff
	v_cndmask_b32_e64 v19, 0, 0x21c, s0
	v_mul_f16_e32 v119, v30, v20
	v_mul_f16_e32 v121, v116, v16
	;; [unrolled: 1-line block ×3, first 2 shown]
	v_fma_f16 v106, v106, v18, -v15
	v_add_f16_e32 v15, v111, v117
	v_mul_f16_e32 v20, v66, v20
	v_fmac_f16_e32 v121, v67, v17
	v_fma_f16 v116, v116, v17, -v16
	v_add_f16_e32 v16, v11, v12
	v_add_f16_e32 v17, v61, v111
	v_fmac_f16_e32 v61, -0.5, v15
	v_sub_f16_e32 v15, v11, v12
	v_add_f16_e32 v11, v109, v11
	v_fmac_f16_e32 v109, -0.5, v16
	v_add_f16_e32 v16, v17, v117
	v_sub_f16_e32 v17, v111, v117
	v_fmac_f16_e32 v123, v70, v18
	v_add_f16_e32 v11, v11, v12
	v_add_f16_e32 v12, v102, v89
	v_add3_u32 v9, 0, v19, v9
	v_fmamk_f16 v111, v17, 0x3aee, v109
	v_fmac_f16_e32 v109, 0xbaee, v17
	v_add_f16_e32 v17, v65, v102
	v_fmac_f16_e32 v65, -0.5, v12
	v_sub_f16_e32 v12, v13, v14
	v_fmamk_f16 v18, v15, 0xbaee, v61
	v_fmac_f16_e32 v61, 0x3aee, v15
	v_add_f16_e32 v15, v13, v14
	v_fma_f16 v122, v30, v24, -v20
	v_fmamk_f16 v19, v12, 0xbaee, v65
	v_fmac_f16_e32 v65, 0x3aee, v12
	v_add_f16_e32 v12, v87, v83
	s_wait_dscnt 0x0
	v_add_f16_e32 v13, v124, v13
	v_fmac_f16_e32 v124, -0.5, v15
	v_add_f16_e32 v15, v17, v89
	v_sub_f16_e32 v17, v102, v89
	v_add_f16_e32 v20, v88, v81
	v_add_f16_e32 v21, v64, v87
	v_fmac_f16_e32 v64, -0.5, v12
	v_sub_f16_e32 v12, v100, v85
	v_fmac_f16_e32 v119, v66, v24
	v_add_f16_e32 v13, v13, v14
	v_fmamk_f16 v14, v17, 0x3aee, v124
	v_add_f16_e32 v22, v63, v88
	v_fmac_f16_e32 v63, -0.5, v20
	v_sub_f16_e32 v20, v80, v103
	v_fmac_f16_e32 v124, 0xbaee, v17
	v_fmamk_f16 v17, v12, 0xbaee, v64
	v_fmac_f16_e32 v64, 0x3aee, v12
	v_add_f16_e32 v12, v78, v104
	v_add_f16_e32 v24, v77, v114
	v_fmac_f16_e32 v118, v68, v23
	v_fmamk_f16 v23, v20, 0xbaee, v63
	v_fmac_f16_e32 v63, 0x3aee, v20
	v_add_f16_e32 v20, v62, v78
	v_fmac_f16_e32 v62, -0.5, v12
	v_sub_f16_e32 v12, v79, v105
	v_add_f16_e32 v25, v75, v115
	v_add_f16_e32 v26, v60, v77
	v_fmac_f16_e32 v60, -0.5, v24
	v_sub_f16_e32 v24, v107, v101
	v_add_f16_e32 v27, v59, v75
	v_fmac_f16_e32 v59, -0.5, v25
	v_sub_f16_e32 v25, v72, v73
	v_fmamk_f16 v28, v12, 0xbaee, v62
	v_fmac_f16_e32 v62, 0x3aee, v12
	v_fmamk_f16 v12, v24, 0xbaee, v60
	v_fmac_f16_e32 v60, 0x3aee, v24
	v_add_f16_e32 v24, v74, v108
	v_add_f16_e32 v30, v118, v119
	;; [unrolled: 1-line block ×3, first 2 shown]
	v_fmamk_f16 v29, v25, 0xbaee, v59
	v_fmac_f16_e32 v59, 0x3aee, v25
	v_add_f16_e32 v25, v56, v74
	v_fmac_f16_e32 v56, -0.5, v24
	v_sub_f16_e32 v24, v71, v69
	v_add_f16_e32 v67, v57, v118
	v_fmac_f16_e32 v57, -0.5, v30
	v_sub_f16_e32 v30, v120, v122
	;; [unrolled: 3-line block ×3, first 2 shown]
	v_fmamk_f16 v70, v24, 0xbaee, v56
	v_fmac_f16_e32 v56, 0x3aee, v24
	v_fmamk_f16 v24, v30, 0xbaee, v57
	v_fmac_f16_e32 v57, 0x3aee, v30
	v_fmamk_f16 v30, v66, 0xbaee, v58
	v_fmac_f16_e32 v58, 0x3aee, v66
	v_and_b32_e32 v66, 0xffff, v76
	ds_load_u16 v117, v50
	ds_load_u16 v76, v46
	;; [unrolled: 1-line block ×5, first 2 shown]
	global_wb scope:SCOPE_SE
	s_wait_dscnt 0x0
	s_barrier_signal -1
	v_mul_u32_u24_e32 v66, 0x21c, v66
	s_barrier_wait -1
	global_inv scope:SCOPE_SE
	v_add_f16_e32 v21, v21, v83
	v_sub_f16_e32 v75, v75, v115
	v_add3_u32 v82, 0, v66, v82
	ds_store_b16 v42, v16
	ds_store_b16 v42, v18 offset:180
	ds_store_b16 v42, v61 offset:360
	ds_store_b16 v9, v15
	ds_store_b16 v9, v19 offset:180
	ds_store_b16 v9, v65 offset:360
	;; [unrolled: 3-line block ×3, first 2 shown]
	v_lshlrev_b32_e32 v15, 1, v86
	v_lshlrev_b32_e32 v16, 1, v91
	v_mul_u32_u24_e32 v17, 0x21c, v84
	v_lshlrev_b32_e32 v18, 1, v93
	v_mul_u32_u24_e32 v19, 0x21c, v90
	v_add3_u32 v10, 0, v10, v15
	v_add_f16_e32 v15, v22, v81
	v_add3_u32 v84, 0, v17, v16
	v_add_f16_e32 v16, v20, v104
	;; [unrolled: 2-line block ×3, first 2 shown]
	ds_store_b16 v10, v15
	ds_store_b16 v10, v23 offset:180
	ds_store_b16 v10, v63 offset:360
	ds_store_b16 v84, v16
	ds_store_b16 v84, v28 offset:180
	ds_store_b16 v84, v62 offset:360
	v_lshlrev_b32_e32 v15, 1, v96
	v_mul_u32_u24_e32 v16, 0x21c, v92
	v_lshlrev_b32_e32 v18, 1, v97
	v_mul_u32_u24_e32 v19, 0x21c, v94
	ds_store_b16 v86, v17
	ds_store_b16 v86, v12 offset:180
	ds_store_b16 v86, v60 offset:360
	v_mul_u32_u24_e32 v17, 0x21c, v95
	v_add3_u32 v12, 0, v16, v15
	v_add_f16_e32 v15, v27, v115
	v_lshlrev_b32_e32 v16, 1, v99
	v_add3_u32 v90, 0, v19, v18
	v_add_f16_e32 v18, v25, v108
	ds_store_b16 v12, v15
	ds_store_b16 v12, v29 offset:180
	ds_store_b16 v12, v59 offset:360
	v_add3_u32 v91, 0, v17, v16
	v_add_f16_e32 v15, v67, v119
	v_add_f16_e32 v16, v68, v123
	v_lshl_add_u32 v92, v98, 1, 0
	ds_store_b16 v90, v18
	ds_store_b16 v90, v70 offset:180
	ds_store_b16 v90, v56 offset:360
	ds_store_b16 v91, v15
	ds_store_b16 v91, v24 offset:180
	ds_store_b16 v91, v57 offset:360
	;; [unrolled: 1-line block ×5, first 2 shown]
	global_wb scope:SCOPE_SE
	s_wait_dscnt 0x0
	s_barrier_signal -1
	s_barrier_wait -1
	global_inv scope:SCOPE_SE
	ds_load_u16 v63, v42 offset:3564
	ds_load_u16 v61, v42 offset:3726
	ds_load_u16 v59, v42 offset:3888
	ds_load_u16 v17, v45
	ds_load_u16 v21, v42
	ds_load_u16 v67, v42 offset:1620
	ds_load_u16 v66, v42 offset:1782
	;; [unrolled: 1-line block ×7, first 2 shown]
	ds_load_u16 v19, v46
	ds_load_u16 v15, v47
	;; [unrolled: 1-line block ×3, first 2 shown]
	ds_load_u16 v30, v42 offset:2754
	ds_load_u16 v28, v42 offset:2916
	;; [unrolled: 1-line block ×6, first 2 shown]
	ds_load_u16 v23, v50
	ds_load_u16 v24, v51
	;; [unrolled: 1-line block ×3, first 2 shown]
	ds_load_u16 v68, v42 offset:3402
	ds_load_u16 v70, v42 offset:3240
	;; [unrolled: 1-line block ×3, first 2 shown]
	ds_load_u16 v20, v44
	ds_load_u16 v22, v43
	ds_load_u16 v27, v42 offset:4698
	global_wb scope:SCOPE_SE
	s_wait_dscnt 0x0
	s_barrier_signal -1
	s_barrier_wait -1
	global_inv scope:SCOPE_SE
	ds_store_b16 v42, v11
	ds_store_b16 v42, v111 offset:180
	ds_store_b16 v42, v109 offset:360
	v_add_f16_e32 v11, v100, v85
	ds_store_b16 v9, v13
	ds_store_b16 v9, v14 offset:180
	ds_store_b16 v9, v124 offset:360
	v_add_f16_e32 v9, v80, v103
	v_add_f16_e32 v13, v117, v100
	;; [unrolled: 1-line block ×3, first 2 shown]
	v_fmac_f16_e32 v117, -0.5, v11
	v_sub_f16_e32 v11, v87, v83
	v_fmac_f16_e32 v113, -0.5, v9
	v_sub_f16_e32 v9, v88, v81
	v_add_f16_e32 v13, v13, v85
	v_lshrrev_b32_e32 v87, 23, v54
	v_fmamk_f16 v80, v11, 0x3aee, v117
	v_fmac_f16_e32 v117, 0xbaee, v11
	v_add_f16_e32 v11, v14, v103
	v_add_f16_e32 v14, v79, v105
	v_fmamk_f16 v81, v9, 0x3aee, v113
	v_fmac_f16_e32 v113, 0xbaee, v9
	v_add_f16_e32 v9, v107, v101
	v_add_f16_e32 v79, v112, v79
	v_fmac_f16_e32 v112, -0.5, v14
	v_sub_f16_e32 v14, v78, v104
	v_add_f16_e32 v78, v110, v107
	v_fmac_f16_e32 v110, -0.5, v9
	v_sub_f16_e32 v9, v77, v114
	v_add_f16_e32 v77, v79, v105
	v_fmamk_f16 v79, v14, 0x3aee, v112
	v_fmac_f16_e32 v112, 0xbaee, v14
	v_add_f16_e32 v14, v78, v101
	v_fmamk_f16 v83, v9, 0x3aee, v110
	v_fmac_f16_e32 v110, 0xbaee, v9
	v_add_f16_e32 v9, v71, v69
	v_add_f16_e32 v78, v72, v73
	;; [unrolled: 1-line block ×4, first 2 shown]
	s_delay_alu instid0(VALU_DEP_4)
	v_fmac_f16_e32 v89, -0.5, v9
	v_sub_f16_e32 v9, v74, v108
	v_fmac_f16_e32 v76, -0.5, v78
	v_add_f16_e32 v69, v71, v69
	v_add_f16_e32 v71, v120, v122
	;; [unrolled: 1-line block ×3, first 2 shown]
	v_fmamk_f16 v74, v9, 0x3aee, v89
	v_fmac_f16_e32 v89, 0xbaee, v9
	v_add_f16_e32 v9, v116, v106
	v_fmamk_f16 v73, v75, 0x3aee, v76
	v_fmac_f16_e32 v76, 0xbaee, v75
	v_add_f16_e32 v75, v102, v120
	v_fmac_f16_e32 v102, -0.5, v71
	v_sub_f16_e32 v71, v118, v119
	v_add_f16_e32 v78, v125, v116
	v_fmac_f16_e32 v125, -0.5, v9
	v_sub_f16_e32 v9, v121, v123
	v_add_f16_e32 v75, v75, v122
	v_fmamk_f16 v85, v71, 0x3aee, v102
	v_fmac_f16_e32 v102, 0xbaee, v71
	v_add_f16_e32 v71, v78, v106
	v_fmamk_f16 v78, v9, 0x3aee, v125
	v_fmac_f16_e32 v125, 0xbaee, v9
	ds_store_b16 v82, v13
	ds_store_b16 v82, v80 offset:180
	ds_store_b16 v82, v117 offset:360
	ds_store_b16 v10, v11
	ds_store_b16 v10, v81 offset:180
	ds_store_b16 v10, v113 offset:360
	;; [unrolled: 3-line block ×7, first 2 shown]
	v_dual_mov_b32 v10, v6 :: v_dual_lshlrev_b32 v9, 1, v34
	v_subrev_nc_u32_e32 v13, 27, v31
	v_dual_mov_b32 v12, v6 :: v_dual_lshlrev_b32 v11, 1, v37
	ds_store_b16 v92, v71 offset:4320
	ds_store_b16 v92, v78 offset:4500
	;; [unrolled: 1-line block ×3, first 2 shown]
	v_lshlrev_b64_e32 v[9:10], 2, v[9:10]
	global_wb scope:SCOPE_SE
	s_wait_dscnt 0x0
	s_barrier_signal -1
	s_barrier_wait -1
	global_inv scope:SCOPE_SE
	global_load_b64 v[71:72], v[7:8], off offset:1040
	v_add_co_u32 v9, s0, s8, v9
	s_wait_alu 0xf1ff
	v_add_co_ci_u32_e64 v10, s0, s9, v10, s0
	v_cmp_gt_u32_e64 s0, 27, v31
	v_lshlrev_b64_e32 v[11:12], 2, v[11:12]
	v_mov_b32_e32 v14, v6
	global_load_b64 v[73:74], v[9:10], off offset:1040
	v_add_nc_u32_e32 v79, 0x6c, v5
	s_wait_alu 0xf1ff
	v_cndmask_b32_e64 v13, v13, v32, s0
	v_mov_b32_e32 v80, v6
	v_add_co_u32 v11, s0, s8, v11
	s_wait_alu 0xf1ff
	v_add_co_ci_u32_e64 v12, s0, s9, v12, s0
	v_lshlrev_b32_e32 v13, 1, v13
	v_lshlrev_b64_e32 v[79:80], 2, v[79:80]
	v_add_nc_u32_e32 v81, 0x10e, v5
	global_load_b64 v[77:78], v[11:12], off offset:1040
	v_mov_b32_e32 v82, v6
	v_lshlrev_b64_e32 v[75:76], 2, v[13:14]
	v_mul_u32_u24_e32 v14, 0x795d, v55
	v_lshrrev_b32_e32 v69, 23, v52
	v_add_nc_u32_e32 v5, 0, v5
	v_lshlrev_b64_e32 v[81:82], 2, v[81:82]
	v_add_co_u32 v75, s0, s8, v75
	s_wait_alu 0xf1ff
	v_add_co_ci_u32_e64 v76, s0, s9, v76, s0
	v_add_co_u32 v79, s0, s8, v79
	s_wait_alu 0xf1ff
	v_add_co_ci_u32_e64 v80, s0, s9, v80, s0
	global_load_b64 v[75:76], v[75:76], off offset:1040
	v_lshrrev_b32_e32 v14, 23, v14
	v_add_co_u32 v81, s0, s8, v81
	global_load_b64 v[79:80], v[79:80], off offset:1040
	s_wait_alu 0xf1ff
	v_add_co_ci_u32_e64 v82, s0, s9, v82, s0
	v_mul_lo_u16 v55, 0x10e, v14
	v_cmp_lt_u32_e64 s0, 26, v31
	v_mul_u32_u24_e32 v14, 0x654, v14
	global_load_b64 v[81:82], v[81:82], off offset:1040
	v_sub_nc_u16 v55, v33, v55
	s_delay_alu instid0(VALU_DEP_1) | instskip(SKIP_1) | instid1(VALU_DEP_2)
	v_and_b32_e32 v52, 0xffff, v55
	v_mul_lo_u16 v55, 0x10e, v69
	v_lshlrev_b32_e32 v69, 3, v52
	s_delay_alu instid0(VALU_DEP_2) | instskip(SKIP_3) | instid1(VALU_DEP_2)
	v_sub_nc_u16 v55, v36, v55
	global_load_b64 v[83:84], v69, s[8:9] offset:1040
	v_mul_lo_u16 v69, 0x10e, v53
	v_and_b32_e32 v53, 0xffff, v55
	v_sub_nc_u16 v55, v40, v69
	s_delay_alu instid0(VALU_DEP_2) | instskip(NEXT) | instid1(VALU_DEP_2)
	v_lshlrev_b32_e32 v69, 3, v53
	v_and_b32_e32 v54, 0xffff, v55
	global_load_b64 v[85:86], v69, s[8:9] offset:1040
	v_mul_lo_u16 v55, 0x10e, v87
	v_lshlrev_b32_e32 v69, 3, v54
	s_delay_alu instid0(VALU_DEP_2) | instskip(SKIP_2) | instid1(VALU_DEP_1)
	v_sub_nc_u16 v55, v38, v55
	global_load_b64 v[87:88], v69, s[8:9] offset:1040
	v_and_b32_e32 v55, 0xffff, v55
	v_lshlrev_b32_e32 v69, 3, v55
	global_load_b64 v[89:90], v69, s[8:9] offset:1040
	ds_load_u16 v91, v42 offset:1620
	ds_load_u16 v92, v42 offset:3240
	;; [unrolled: 1-line block ×8, first 2 shown]
	ds_load_u16 v69, v42
	ds_load_u16 v100, v42 offset:3402
	s_wait_loadcnt 0x9
	v_lshrrev_b32_e32 v93, 16, v71
	v_lshrrev_b32_e32 v102, 16, v72
	s_wait_dscnt 0x9
	s_delay_alu instid0(VALU_DEP_2)
	v_mul_f16_e32 v101, v91, v93
	v_mul_f16_e32 v93, v67, v93
	s_wait_dscnt 0x8
	v_mul_f16_e32 v106, v92, v102
	s_wait_loadcnt 0x8
	v_lshrrev_b32_e32 v107, 16, v73
	v_fmac_f16_e32 v101, v67, v71
	ds_load_u16 v67, v42 offset:3564
	ds_load_u16 v103, v42 offset:3726
	;; [unrolled: 1-line block ×4, first 2 shown]
	v_fma_f16 v71, v91, v71, -v93
	v_mul_f16_e32 v91, v70, v102
	v_lshrrev_b32_e32 v93, 16, v74
	v_fmac_f16_e32 v106, v70, v72
	s_wait_dscnt 0xb
	v_mul_f16_e32 v70, v94, v107
	v_mul_f16_e32 v102, v66, v107
	v_fma_f16 v72, v92, v72, -v91
	s_wait_dscnt 0x4
	v_mul_f16_e32 v91, v100, v93
	s_wait_loadcnt 0x7
	v_lshrrev_b32_e32 v92, 16, v77
	v_fmac_f16_e32 v70, v66, v73
	v_mul_f16_e32 v66, v68, v93
	v_lshrrev_b32_e32 v93, 16, v78
	v_fmac_f16_e32 v91, v68, v74
	v_mul_f16_e32 v68, v95, v92
	v_mul_f16_e32 v92, v65, v92
	v_fma_f16 v74, v100, v74, -v66
	v_fma_f16 v73, v94, v73, -v102
	s_delay_alu instid0(VALU_DEP_4) | instskip(NEXT) | instid1(VALU_DEP_4)
	v_fmac_f16_e32 v68, v65, v77
	v_fma_f16 v65, v95, v77, -v92
	s_wait_dscnt 0x3
	v_mul_f16_e32 v77, v67, v93
	v_mul_f16_e32 v92, v63, v93
	s_wait_loadcnt 0x6
	v_lshrrev_b32_e32 v66, 16, v75
	v_lshrrev_b32_e32 v94, 16, v76
	v_fmac_f16_e32 v77, v63, v78
	v_fma_f16 v63, v67, v78, -v92
	s_wait_loadcnt 0x5
	v_lshrrev_b32_e32 v92, 16, v80
	v_mul_f16_e32 v93, v96, v66
	v_mul_f16_e32 v66, v64, v66
	;; [unrolled: 1-line block ×3, first 2 shown]
	ds_load_u16 v78, v42 offset:4050
	v_fmac_f16_e32 v93, v64, v75
	s_wait_dscnt 0x3
	v_mul_f16_e32 v64, v103, v94
	v_fma_f16 v75, v96, v75, -v66
	v_lshrrev_b32_e32 v66, 16, v79
	s_wait_dscnt 0x2
	v_mul_f16_e32 v94, v104, v92
	v_fmac_f16_e32 v64, v61, v76
	v_fma_f16 v76, v103, v76, -v67
	v_mul_f16_e32 v61, v97, v66
	v_mul_f16_e32 v66, v62, v66
	s_wait_loadcnt 0x4
	v_lshrrev_b32_e32 v67, 16, v81
	v_fmac_f16_e32 v94, v59, v80
	v_fmac_f16_e32 v61, v62, v79
	v_fma_f16 v62, v97, v79, -v66
	v_mul_f16_e32 v79, v59, v92
	ds_load_u16 v92, v42 offset:4212
	v_mul_f16_e32 v59, v98, v67
	ds_load_u16 v66, v45
	v_mul_f16_e32 v67, v60, v67
	v_fma_f16 v79, v104, v80, -v79
	v_lshrrev_b32_e32 v80, 16, v82
	v_fmac_f16_e32 v59, v60, v81
	ds_load_u16 v60, v42 offset:2754
	v_fma_f16 v81, v98, v81, -v67
	ds_load_u16 v95, v42 offset:4374
	ds_load_u16 v96, v42 offset:4536
	;; [unrolled: 1-line block ×3, first 2 shown]
	ds_load_u16 v67, v44
	ds_load_u16 v98, v43
	s_wait_dscnt 0x8
	v_mul_f16_e32 v100, v78, v80
	s_wait_loadcnt 0x3
	v_lshrrev_b32_e32 v102, 16, v83
	v_mul_f16_e32 v80, v58, v80
	v_lshrrev_b32_e32 v103, 16, v84
	ds_load_u16 v104, v42 offset:2916
	v_fmac_f16_e32 v100, v58, v82
	v_mul_f16_e32 v58, v99, v102
	v_fma_f16 v78, v78, v82, -v80
	v_mul_f16_e32 v80, v56, v102
	s_wait_loadcnt 0x2
	v_lshrrev_b32_e32 v102, 16, v85
	s_wait_dscnt 0x8
	v_mul_f16_e32 v82, v92, v103
	v_fmac_f16_e32 v58, v56, v83
	v_mul_f16_e32 v56, v57, v103
	v_fma_f16 v80, v99, v83, -v80
	ds_load_u16 v99, v47
	v_fmac_f16_e32 v82, v57, v84
	v_lshrrev_b32_e32 v83, 16, v86
	s_wait_dscnt 0x7
	v_mul_f16_e32 v57, v60, v102
	v_fma_f16 v56, v92, v84, -v56
	v_mul_f16_e32 v84, v30, v102
	s_wait_loadcnt 0x1
	v_lshrrev_b32_e32 v92, 16, v87
	v_fmac_f16_e32 v57, v30, v85
	s_wait_dscnt 0x6
	v_mul_f16_e32 v30, v95, v83
	v_mul_f16_e32 v83, v29, v83
	v_fma_f16 v60, v60, v85, -v84
	s_wait_dscnt 0x1
	v_mul_f16_e32 v84, v104, v92
	v_lshrrev_b32_e32 v85, 16, v88
	v_fmac_f16_e32 v30, v29, v86
	v_mul_f16_e32 v29, v28, v92
	v_fma_f16 v83, v95, v86, -v83
	ds_load_u16 v95, v50
	v_fmac_f16_e32 v84, v28, v87
	v_mul_f16_e32 v28, v96, v85
	s_wait_loadcnt 0x0
	v_lshrrev_b32_e32 v86, 16, v89
	v_fma_f16 v29, v104, v87, -v29
	v_lshrrev_b32_e32 v87, 16, v90
	v_mul_f16_e32 v85, v25, v85
	v_fmac_f16_e32 v28, v25, v88
	v_mul_f16_e32 v25, v105, v86
	v_mul_f16_e32 v86, v26, v86
	;; [unrolled: 1-line block ×4, first 2 shown]
	v_fma_f16 v85, v96, v88, -v85
	v_fmac_f16_e32 v25, v26, v89
	v_fma_f16 v26, v105, v89, -v86
	v_fmac_f16_e32 v92, v27, v90
	v_add_f16_e32 v27, v101, v106
	v_fma_f16 v86, v97, v90, -v87
	ds_load_u16 v87, v51
	v_add_f16_e32 v88, v71, v72
	v_add_f16_e32 v89, v21, v101
	v_fmac_f16_e32 v21, -0.5, v27
	v_sub_f16_e32 v27, v71, v72
	v_add_f16_e32 v71, v69, v71
	v_fmac_f16_e32 v69, -0.5, v88
	v_add_f16_e32 v88, v89, v106
	v_sub_f16_e32 v89, v101, v106
	v_fmamk_f16 v90, v27, 0xbaee, v21
	v_fmac_f16_e32 v21, 0x3aee, v27
	v_add_f16_e32 v27, v70, v91
	v_add_f16_e32 v71, v71, v72
	v_fmamk_f16 v72, v89, 0x3aee, v69
	v_fmac_f16_e32 v69, 0xbaee, v89
	v_add_f16_e32 v89, v73, v74
	v_add_f16_e32 v96, v24, v70
	v_fmac_f16_e32 v24, -0.5, v27
	v_sub_f16_e32 v27, v73, v74
	v_sub_f16_e32 v70, v70, v91
	s_wait_dscnt 0x0
	v_add_f16_e32 v73, v87, v73
	v_fmac_f16_e32 v87, -0.5, v89
	v_add_f16_e32 v89, v96, v91
	v_fmamk_f16 v91, v27, 0xbaee, v24
	v_fmac_f16_e32 v24, 0x3aee, v27
	v_add_f16_e32 v27, v68, v77
	v_add_f16_e32 v73, v73, v74
	v_fmamk_f16 v74, v70, 0x3aee, v87
	v_fmac_f16_e32 v87, 0xbaee, v70
	v_add_f16_e32 v70, v65, v63
	v_add_f16_e32 v96, v23, v68
	v_fmac_f16_e32 v23, -0.5, v27
	v_sub_f16_e32 v27, v65, v63
	v_add_f16_e32 v65, v95, v65
	v_fmac_f16_e32 v95, -0.5, v70
	v_add_f16_e32 v70, v96, v77
	v_sub_f16_e32 v68, v68, v77
	v_fmamk_f16 v77, v27, 0xbaee, v23
	v_fmac_f16_e32 v23, 0x3aee, v27
	v_add_f16_e32 v27, v93, v64
	v_add_f16_e32 v96, v65, v63
	;; [unrolled: 1-line block ×4, first 2 shown]
	v_fmamk_f16 v97, v68, 0x3aee, v95
	v_fmac_f16_e32 v22, -0.5, v27
	v_sub_f16_e32 v27, v75, v76
	v_fmac_f16_e32 v95, 0xbaee, v68
	v_add_f16_e32 v68, v98, v75
	v_fmac_f16_e32 v98, -0.5, v63
	v_add_f16_e32 v63, v65, v64
	v_sub_f16_e32 v64, v93, v64
	v_fmamk_f16 v65, v27, 0xbaee, v22
	v_fmac_f16_e32 v22, 0x3aee, v27
	v_add_f16_e32 v27, v61, v94
	v_add_f16_e32 v68, v68, v76
	v_fmamk_f16 v75, v64, 0x3aee, v98
	v_fmac_f16_e32 v98, 0xbaee, v64
	v_add_f16_e32 v64, v62, v79
	v_add_f16_e32 v76, v20, v61
	v_fmac_f16_e32 v20, -0.5, v27
	v_sub_f16_e32 v27, v62, v79
	v_add_f16_e32 v62, v67, v62
	v_fmac_f16_e32 v67, -0.5, v64
	v_sub_f16_e32 v61, v61, v94
	v_add_f16_e32 v64, v76, v94
	ds_load_u16 v94, v46
	v_fmamk_f16 v76, v27, 0xbaee, v20
	v_fmac_f16_e32 v20, 0x3aee, v27
	v_add_f16_e32 v27, v59, v100
	v_add_f16_e32 v79, v62, v79
	v_fmamk_f16 v93, v61, 0x3aee, v67
	v_fmac_f16_e32 v67, 0xbaee, v61
	v_add_f16_e32 v61, v17, v59
	v_add_f16_e32 v62, v81, v78
	v_fmac_f16_e32 v17, -0.5, v27
	v_sub_f16_e32 v27, v81, v78
	v_add_f16_e32 v81, v66, v81
	v_sub_f16_e32 v59, v59, v100
	v_fmac_f16_e32 v66, -0.5, v62
	v_sub_f16_e32 v102, v80, v56
	v_fmamk_f16 v62, v27, 0xbaee, v17
	v_fmac_f16_e32 v17, 0x3aee, v27
	v_add_f16_e32 v27, v58, v82
	v_add_f16_e32 v78, v81, v78
	v_fmamk_f16 v81, v59, 0x3aee, v66
	v_fmac_f16_e32 v66, 0xbaee, v59
	v_add_f16_e32 v59, v19, v58
	v_fmac_f16_e32 v19, -0.5, v27
	v_add_f16_e32 v27, v80, v56
	s_wait_dscnt 0x0
	v_add_f16_e32 v80, v94, v80
	v_add_f16_e32 v61, v61, v100
	ds_load_u16 v100, v48
	ds_load_u16 v101, v49
	v_sub_f16_e32 v58, v58, v82
	v_fmac_f16_e32 v94, -0.5, v27
	v_add_f16_e32 v80, v80, v56
	v_add_f16_e32 v56, v57, v30
	;; [unrolled: 1-line block ×3, first 2 shown]
	v_fmamk_f16 v59, v102, 0xbaee, v19
	v_fmac_f16_e32 v19, 0x3aee, v102
	v_fmamk_f16 v82, v58, 0x3aee, v94
	v_fmac_f16_e32 v94, 0xbaee, v58
	v_add_f16_e32 v58, v60, v83
	v_add_f16_e32 v102, v15, v57
	v_fmac_f16_e32 v15, -0.5, v56
	v_sub_f16_e32 v56, v60, v83
	v_add_f16_e32 v60, v99, v60
	v_fmac_f16_e32 v99, -0.5, v58
	v_add_f16_e32 v58, v102, v30
	v_sub_f16_e32 v30, v57, v30
	v_fmamk_f16 v57, v56, 0xbaee, v15
	v_fmac_f16_e32 v15, 0x3aee, v56
	v_add_f16_e32 v56, v84, v28
	v_add_f16_e32 v83, v60, v83
	v_fmamk_f16 v102, v30, 0x3aee, v99
	v_fmac_f16_e32 v99, 0xbaee, v30
	v_add_f16_e32 v30, v29, v85
	v_add_f16_e32 v60, v16, v84
	v_fmac_f16_e32 v16, -0.5, v56
	v_sub_f16_e32 v56, v29, v85
	s_wait_dscnt 0x1
	v_add_f16_e32 v29, v100, v29
	v_fmac_f16_e32 v100, -0.5, v30
	v_add_f16_e32 v30, v60, v28
	v_sub_f16_e32 v28, v84, v28
	global_wb scope:SCOPE_SE
	s_wait_dscnt 0x0
	s_barrier_signal -1
	s_barrier_wait -1
	global_inv scope:SCOPE_SE
	ds_store_b16 v42, v88
	ds_store_b16 v42, v90 offset:540
	ds_store_b16 v42, v21 offset:1080
	s_wait_alu 0xf1ff
	v_cndmask_b32_e64 v21, 0, 0x654, s0
	v_add_f16_e32 v84, v29, v85
	v_add_f16_e32 v29, v25, v92
	v_fmamk_f16 v85, v28, 0x3aee, v100
	v_fmac_f16_e32 v100, 0xbaee, v28
	v_add_f16_e32 v28, v26, v86
	ds_store_b16 v51, v89
	ds_store_b16 v51, v91 offset:540
	ds_store_b16 v51, v24 offset:1080
	v_lshlrev_b32_e32 v24, 1, v52
	v_add3_u32 v13, 0, v21, v13
	v_fmamk_f16 v60, v56, 0xbaee, v16
	v_fmac_f16_e32 v16, 0x3aee, v56
	v_add_f16_e32 v56, v18, v25
	v_fmac_f16_e32 v18, -0.5, v29
	v_sub_f16_e32 v29, v26, v86
	v_add_f16_e32 v26, v101, v26
	v_fmac_f16_e32 v101, -0.5, v28
	v_sub_f16_e32 v25, v25, v92
	ds_store_b16 v50, v70
	ds_store_b16 v50, v77 offset:540
	ds_store_b16 v50, v23 offset:1080
	v_add3_u32 v14, 0, v14, v24
	v_lshl_add_u32 v70, v53, 1, 0
	ds_store_b16 v13, v63
	ds_store_b16 v13, v65 offset:540
	ds_store_b16 v13, v22 offset:1080
	;; [unrolled: 1-line block ×8, first 2 shown]
	v_lshl_add_u32 v76, v54, 1, 0
	v_add_f16_e32 v28, v56, v92
	v_fmamk_f16 v56, v29, 0xbaee, v18
	v_fmac_f16_e32 v18, 0x3aee, v29
	v_add_f16_e32 v86, v26, v86
	v_fmamk_f16 v92, v25, 0x3aee, v101
	v_fmac_f16_e32 v101, 0xbaee, v25
	ds_store_b16 v14, v27
	ds_store_b16 v14, v59 offset:540
	ds_store_b16 v14, v19 offset:1080
	v_lshl_add_u32 v77, v55, 1, 0
	ds_store_b16 v70, v58 offset:3240
	ds_store_b16 v70, v57 offset:3780
	;; [unrolled: 1-line block ×9, first 2 shown]
	global_wb scope:SCOPE_SE
	s_wait_dscnt 0x0
	s_barrier_signal -1
	s_barrier_wait -1
	global_inv scope:SCOPE_SE
	ds_load_u16 v56, v42 offset:3564
	ds_load_u16 v15, v42 offset:3726
	;; [unrolled: 1-line block ×3, first 2 shown]
	ds_load_u16 v18, v45
	ds_load_u16 v27, v42
	ds_load_u16 v57, v42 offset:1620
	ds_load_u16 v58, v42 offset:1782
	;; [unrolled: 1-line block ×7, first 2 shown]
	ds_load_u16 v22, v46
	ds_load_u16 v25, v47
	;; [unrolled: 1-line block ×3, first 2 shown]
	ds_load_u16 v53, v42 offset:2754
	ds_load_u16 v59, v42 offset:2916
	;; [unrolled: 1-line block ×6, first 2 shown]
	ds_load_u16 v52, v50
	ds_load_u16 v30, v51
	;; [unrolled: 1-line block ×3, first 2 shown]
	ds_load_u16 v63, v42 offset:3402
	ds_load_u16 v62, v42 offset:3240
	;; [unrolled: 1-line block ×3, first 2 shown]
	ds_load_u16 v20, v44
	ds_load_u16 v17, v43
	ds_load_u16 v65, v42 offset:4698
	global_wb scope:SCOPE_SE
	s_wait_dscnt 0x0
	s_barrier_signal -1
	s_barrier_wait -1
	global_inv scope:SCOPE_SE
	ds_store_b16 v42, v71
	ds_store_b16 v42, v72 offset:540
	ds_store_b16 v42, v69 offset:1080
	ds_store_b16 v51, v73
	ds_store_b16 v51, v74 offset:540
	ds_store_b16 v51, v87 offset:1080
	;; [unrolled: 3-line block ×4, first 2 shown]
	ds_store_b16 v5, v79 offset:1728
	ds_store_b16 v5, v78 offset:1890
	;; [unrolled: 1-line block ×6, first 2 shown]
	ds_store_b16 v14, v80
	ds_store_b16 v14, v82 offset:540
	ds_store_b16 v14, v94 offset:1080
	;; [unrolled: 1-line block ×11, first 2 shown]
	global_wb scope:SCOPE_SE
	s_wait_dscnt 0x0
	s_barrier_signal -1
	s_barrier_wait -1
	global_inv scope:SCOPE_SE
	s_and_saveexec_b32 s0, vcc_lo
	s_cbranch_execz .LBB0_15
; %bb.14:
	v_lshlrev_b32_e32 v5, 1, v38
	v_lshlrev_b64_e32 v[1:2], 2, v[1:2]
	v_add_nc_u32_e32 v97, 0xa2, v31
	s_delay_alu instid0(VALU_DEP_3) | instskip(SKIP_2) | instid1(VALU_DEP_4)
	v_lshlrev_b64_e32 v[13:14], 2, v[5:6]
	v_lshlrev_b32_e32 v5, 1, v40
	v_mul_hi_u32 v40, 0x50e89cc3, v31
	v_mul_hi_u32 v98, 0x50e89cc3, v97
	s_delay_alu instid0(VALU_DEP_3) | instskip(SKIP_4) | instid1(VALU_DEP_3)
	v_lshlrev_b64_e32 v[50:51], 2, v[5:6]
	v_lshlrev_b32_e32 v5, 1, v36
	v_add_co_u32 v13, vcc_lo, s8, v13
	s_wait_alu 0xfffd
	v_add_co_ci_u32_e32 v14, vcc_lo, s9, v14, vcc_lo
	v_lshlrev_b64_e32 v[66:67], 2, v[5:6]
	v_lshlrev_b32_e32 v5, 1, v33
	v_add_co_u32 v50, vcc_lo, s8, v50
	s_wait_alu 0xfffd
	v_add_co_ci_u32_e32 v51, vcc_lo, s9, v51, vcc_lo
	s_delay_alu instid0(VALU_DEP_3)
	v_lshlrev_b64_e32 v[68:69], 2, v[5:6]
	v_lshlrev_b32_e32 v5, 1, v39
	s_clause 0x3
	global_load_b64 v[13:14], v[13:14], off offset:3200
	global_load_b64 v[11:12], v[11:12], off offset:3200
	;; [unrolled: 1-line block ×4, first 2 shown]
	v_add_co_u32 v66, vcc_lo, s8, v66
	global_load_b64 v[50:51], v[50:51], off offset:3200
	s_wait_alu 0xfffd
	v_add_co_ci_u32_e32 v67, vcc_lo, s9, v67, vcc_lo
	v_lshlrev_b64_e32 v[38:39], 2, v[5:6]
	v_lshlrev_b32_e32 v5, 1, v35
	v_add_co_u32 v68, vcc_lo, s8, v68
	global_load_b64 v[66:67], v[66:67], off offset:3200
	s_wait_alu 0xfffd
	v_add_co_ci_u32_e32 v69, vcc_lo, s9, v69, vcc_lo
	v_lshlrev_b64_e32 v[35:36], 2, v[5:6]
	v_lshlrev_b32_e32 v5, 1, v32
	v_add_co_u32 v38, vcc_lo, s8, v38
	global_load_b64 v[68:69], v[68:69], off offset:3200
	s_wait_alu 0xfffd
	v_add_co_ci_u32_e32 v39, vcc_lo, s9, v39, vcc_lo
	v_lshlrev_b64_e32 v[5:6], 2, v[5:6]
	v_add_co_u32 v35, vcc_lo, s8, v35
	global_load_b64 v[38:39], v[38:39], off offset:3200
	s_wait_alu 0xfffd
	v_add_co_ci_u32_e32 v36, vcc_lo, s9, v36, vcc_lo
	v_add_co_u32 v5, vcc_lo, s8, v5
	s_wait_alu 0xfffd
	v_add_co_ci_u32_e32 v6, vcc_lo, s9, v6, vcc_lo
	global_load_b64 v[35:36], v[35:36], off offset:3200
	v_lshrrev_b32_e32 v40, 8, v40
	global_load_b64 v[32:33], v[5:6], off offset:3200
	ds_load_u16 v70, v42 offset:3888
	ds_load_u16 v71, v42 offset:3726
	;; [unrolled: 1-line block ×8, first 2 shown]
	ds_load_u16 v49, v49
	ds_load_u16 v78, v48
	;; [unrolled: 1-line block ×7, first 2 shown]
	v_add_nc_u32_e32 v43, 0x51, v31
	v_mul_i32_i24_e32 v5, 0xffffffee, v34
	v_mul_i32_i24_e32 v6, 0xffffffee, v37
	v_mul_lo_u32 v34, s3, v3
	v_mul_lo_u32 v37, s2, v4
	v_mad_co_u64_u32 v[3:4], null, s2, v3, 0
	v_mul_hi_u32 v44, 0x50e89cc3, v43
	v_mul_u32_u24_e32 v40, 0x32a, v40
	v_add_nc_u32_e32 v6, v41, v6
	v_add_nc_u32_e32 v0, v0, v5
	ds_load_u16 v84, v42 offset:4698
	ds_load_u16 v85, v42 offset:4536
	;; [unrolled: 1-line block ×5, first 2 shown]
	ds_load_u16 v89, v42
	ds_load_u16 v90, v42 offset:2592
	ds_load_u16 v91, v42 offset:2430
	;; [unrolled: 1-line block ×7, first 2 shown]
	v_add3_u32 v4, v4, v37, v34
	v_sub_nc_u32_e32 v34, v31, v40
	v_lshrrev_b32_e32 v44, 8, v44
	ds_load_u16 v37, v6
	ds_load_u16 v99, v0
	v_lshlrev_b64_e32 v[3:4], 2, v[3:4]
	v_mad_co_u64_u32 v[5:6], null, s16, v34, 0
	v_add_nc_u32_e32 v46, 0x32a, v34
	v_mul_u32_u24_e32 v0, 0x32a, v44
	v_add_nc_u32_e32 v48, 0x654, v34
	v_add_co_u32 v100, vcc_lo, s6, v3
	s_delay_alu instid0(VALU_DEP_4) | instskip(NEXT) | instid1(VALU_DEP_4)
	v_mad_co_u64_u32 v[40:41], null, s16, v46, 0
	v_sub_nc_u32_e32 v45, v43, v0
	v_mov_b32_e32 v0, v6
	s_wait_alu 0xfffd
	v_add_co_ci_u32_e32 v101, vcc_lo, s7, v4, vcc_lo
	v_mad_co_u64_u32 v[42:43], null, s16, v48, 0
	s_delay_alu instid0(VALU_DEP_3) | instskip(SKIP_2) | instid1(VALU_DEP_4)
	v_mad_co_u64_u32 v[3:4], null, s17, v34, v[0:1]
	v_mov_b32_e32 v0, v41
	v_mad_u32_u24 v102, 0x97e, v44, v45
	v_mov_b32_e32 v4, v43
	s_delay_alu instid0(VALU_DEP_3) | instskip(NEXT) | instid1(VALU_DEP_3)
	v_mad_co_u64_u32 v[46:47], null, s17, v46, v[0:1]
	v_mad_co_u64_u32 v[44:45], null, s16, v102, 0
	v_mov_b32_e32 v6, v3
	v_add_co_u32 v0, vcc_lo, v100, v1
	v_mad_co_u64_u32 v[47:48], null, s17, v48, v[4:5]
	v_mov_b32_e32 v41, v46
	s_delay_alu instid0(VALU_DEP_4)
	v_lshlrev_b64_e32 v[3:4], 2, v[5:6]
	s_wait_alu 0xfffd
	v_add_co_ci_u32_e32 v1, vcc_lo, v101, v2, vcc_lo
	v_mov_b32_e32 v2, v45
	v_lshlrev_b64_e32 v[5:6], 2, v[40:41]
	v_mov_b32_e32 v43, v47
	v_add_co_u32 v40, vcc_lo, v0, v3
	s_delay_alu instid0(VALU_DEP_4)
	v_mad_co_u64_u32 v[45:46], null, s17, v102, v[2:3]
	s_wait_alu 0xfffd
	v_add_co_ci_u32_e32 v41, vcc_lo, v1, v4, vcc_lo
	v_add_co_u32 v46, vcc_lo, v0, v5
	s_wait_alu 0xfffd
	v_add_co_ci_u32_e32 v47, vcc_lo, v1, v6, vcc_lo
	v_add_nc_u32_e32 v34, 0x32a, v102
	s_wait_loadcnt 0x9
	v_lshrrev_b32_e32 v2, 16, v13
	v_lshrrev_b32_e32 v3, 16, v14
	s_wait_loadcnt 0x8
	v_lshrrev_b32_e32 v4, 16, v11
	v_lshrrev_b32_e32 v5, 16, v12
	;; [unrolled: 3-line block ×4, first 2 shown]
	v_mul_f16_e32 v103, v64, v2
	v_mul_f16_e32 v104, v65, v3
	s_wait_dscnt 0x18
	v_mul_f16_e32 v2, v75, v2
	s_wait_dscnt 0xe
	v_mul_f16_e32 v105, v84, v3
	s_wait_loadcnt 0x5
	v_lshrrev_b32_e32 v3, 16, v50
	v_lshrrev_b32_e32 v106, 16, v51
	v_mul_f16_e32 v107, v61, v4
	v_mul_f16_e32 v108, v56, v5
	s_wait_dscnt 0x4
	v_mul_f16_e32 v4, v94, v4
	v_mul_f16_e32 v109, v72, v5
	v_mul_f16_e32 v5, v58, v6
	v_mul_f16_e32 v110, v63, v48
	s_wait_dscnt 0x3
	v_mul_f16_e32 v6, v95, v6
	v_mul_f16_e32 v48, v73, v48
	;; [unrolled: 5-line block ×3, first 2 shown]
	v_fma_f16 v75, v13, v75, -v103
	v_fma_f16 v84, v14, v84, -v104
	v_fmac_f16_e32 v2, v64, v13
	v_fmac_f16_e32 v105, v65, v14
	v_mul_f16_e32 v13, v59, v3
	v_mul_f16_e32 v14, v60, v106
	;; [unrolled: 1-line block ×4, first 2 shown]
	s_wait_loadcnt 0x4
	v_lshrrev_b32_e32 v3, 16, v66
	v_lshrrev_b32_e32 v103, 16, v67
	v_fma_f16 v94, v11, v94, -v107
	v_fma_f16 v72, v12, v72, -v108
	v_fmac_f16_e32 v4, v61, v11
	v_fmac_f16_e32 v109, v56, v12
	v_fma_f16 v5, v9, v95, -v5
	v_fma_f16 v11, v10, v73, -v110
	v_fmac_f16_e32 v6, v58, v9
	v_fmac_f16_e32 v48, v63, v10
	;; [unrolled: 4-line block ×3, first 2 shown]
	v_add_f16_e32 v7, v75, v84
	v_add_f16_e32 v12, v49, v75
	;; [unrolled: 1-line block ×4, first 2 shown]
	v_fma_f16 v13, v50, v76, -v13
	v_fma_f16 v14, v51, v85, -v14
	v_fmac_f16_e32 v64, v59, v50
	v_fmac_f16_e32 v65, v60, v51
	v_mul_f16_e32 v50, v53, v3
	v_mul_f16_e32 v59, v77, v3
	;; [unrolled: 1-line block ×3, first 2 shown]
	s_wait_loadcnt 0x3
	v_lshrrev_b32_e32 v61, 16, v68
	v_lshrrev_b32_e32 v62, 16, v69
	v_sub_f16_e32 v8, v2, v105
	v_sub_f16_e32 v57, v75, v84
	v_mul_f16_e32 v51, v54, v103
	v_add_f16_e32 v63, v94, v72
	v_sub_f16_e32 v73, v4, v109
	s_wait_dscnt 0x1
	v_add_f16_e32 v74, v37, v94
	v_add_f16_e32 v75, v4, v109
	v_sub_f16_e32 v76, v94, v72
	v_add_f16_e32 v85, v52, v4
	v_add_f16_e32 v94, v5, v11
	v_sub_f16_e32 v95, v6, v48
	s_wait_dscnt 0x0
	v_add_f16_e32 v96, v99, v5
	v_add_f16_e32 v103, v6, v48
	v_sub_f16_e32 v104, v5, v11
	v_add_f16_e32 v6, v30, v6
	v_add_f16_e32 v106, v9, v10
	;; [unrolled: 1-line block ×4, first 2 shown]
	v_sub_f16_e32 v111, v9, v10
	v_add_f16_e32 v9, v27, v100
	v_fma_f16 v2, -0.5, v7, v49
	v_add_f16_e32 v4, v12, v84
	v_fma_f16 v3, -0.5, v56, v55
	v_add_f16_e32 v5, v58, v105
	v_add_f16_e32 v12, v13, v14
	v_sub_f16_e32 v49, v64, v65
	v_add_f16_e32 v55, v78, v13
	v_add_f16_e32 v56, v64, v65
	v_sub_f16_e32 v58, v13, v14
	v_add_f16_e32 v13, v29, v64
	v_fma_f16 v50, v66, v77, -v50
	v_fmac_f16_e32 v59, v53, v66
	v_fmac_f16_e32 v60, v54, v67
	v_mul_f16_e32 v53, v26, v61
	v_mul_f16_e32 v54, v28, v62
	;; [unrolled: 1-line block ×4, first 2 shown]
	s_wait_loadcnt 0x2
	v_lshrrev_b32_e32 v64, 16, v38
	v_lshrrev_b32_e32 v66, 16, v39
	v_fma_f16 v51, v67, v86, -v51
	v_fma_f16 v37, -0.5, v63, v37
	v_add_f16_e32 v63, v74, v72
	v_add_f16_e32 v74, v96, v11
	;; [unrolled: 1-line block ×4, first 2 shown]
	v_fma_f16 v77, -0.5, v110, v27
	v_add_f16_e32 v11, v9, v101
	v_fmamk_f16 v6, v8, 0xbaee, v2
	v_fmac_f16_e32 v2, 0x3aee, v8
	v_fmamk_f16 v7, v57, 0x3aee, v3
	v_fmac_f16_e32 v3, 0xbaee, v57
	v_fma_f16 v8, -0.5, v12, v78
	v_add_f16_e32 v12, v55, v14
	v_fma_f16 v9, -0.5, v56, v29
	v_add_f16_e32 v13, v13, v65
	v_sub_f16_e32 v29, v59, v60
	v_add_f16_e32 v27, v79, v50
	v_add_f16_e32 v55, v59, v60
	;; [unrolled: 1-line block ×3, first 2 shown]
	v_fmac_f16_e32 v61, v26, v68
	v_fmac_f16_e32 v62, v28, v69
	v_mul_f16_e32 v28, v23, v64
	v_mul_f16_e32 v57, v24, v66
	;; [unrolled: 1-line block ×4, first 2 shown]
	s_wait_loadcnt 0x1
	v_lshrrev_b32_e32 v65, 16, v35
	v_lshrrev_b32_e32 v66, 16, v36
	v_fma_f16 v53, v68, v90, -v53
	v_fma_f16 v54, v69, v87, -v54
	v_add_f16_e32 v67, v85, v109
	v_add_f16_e32 v14, v50, v51
	v_sub_f16_e32 v50, v50, v51
	v_pack_b32_f16 v85, v11, v10
	v_fmamk_f16 v11, v58, 0x3aee, v9
	v_fmac_f16_e32 v9, 0xbaee, v58
	v_add_f16_e32 v26, v27, v51
	v_add_f16_e32 v27, v56, v60
	v_sub_f16_e32 v51, v61, v62
	v_add_f16_e32 v56, v61, v62
	v_add_f16_e32 v58, v22, v61
	v_fma_f16 v28, v38, v91, -v28
	v_fma_f16 v57, v39, v88, -v57
	v_fmac_f16_e32 v59, v23, v38
	v_fmac_f16_e32 v64, v24, v39
	v_mul_f16_e32 v38, v21, v65
	v_mul_f16_e32 v39, v19, v66
	;; [unrolled: 1-line block ×4, first 2 shown]
	s_wait_loadcnt 0x0
	v_lshrrev_b32_e32 v65, 16, v32
	v_lshrrev_b32_e32 v66, 16, v33
	v_sub_f16_e32 v107, v100, v101
	v_fma_f16 v52, -0.5, v75, v52
	v_fma_f16 v75, -0.5, v103, v30
	;; [unrolled: 1-line block ×3, first 2 shown]
	v_fmamk_f16 v10, v49, 0xbaee, v8
	v_fmac_f16_e32 v8, 0x3aee, v49
	v_fma_f16 v25, -0.5, v55, v25
	v_add_f16_e32 v49, v53, v54
	v_add_f16_e32 v55, v80, v53
	v_fmac_f16_e32 v60, v21, v35
	v_fmac_f16_e32 v61, v19, v36
	v_mul_f16_e32 v19, v16, v65
	v_mul_f16_e32 v21, v15, v66
	v_fmamk_f16 v78, v107, 0xbaee, v30
	v_fmac_f16_e32 v30, 0x3aee, v107
	v_fmamk_f16 v84, v111, 0x3aee, v77
	v_fmac_f16_e32 v77, 0xbaee, v111
	v_fma_f16 v14, -0.5, v14, v79
	v_fma_f16 v38, v35, v92, -v38
	v_fma_f16 v39, v36, v70, -v39
	v_mul_f16_e32 v35, v93, v65
	v_mul_f16_e32 v36, v71, v66
	global_store_b32 v[40:41], v85, off
	v_fma_f16 v41, -0.5, v49, v80
	v_add_f16_e32 v49, v55, v54
	v_add_f16_e32 v55, v59, v64
	v_fma_f16 v19, v32, v93, -v19
	v_fma_f16 v21, v33, v71, -v21
	v_sub_f16_e32 v53, v53, v54
	v_pack_b32_f16 v40, v77, v30
	v_fmamk_f16 v23, v29, 0xbaee, v14
	v_fmac_f16_e32 v14, 0x3aee, v29
	v_fmamk_f16 v24, v50, 0x3aee, v25
	v_fmac_f16_e32 v25, 0xbaee, v50
	v_fma_f16 v50, -0.5, v56, v22
	v_add_f16_e32 v22, v28, v57
	v_sub_f16_e32 v29, v59, v64
	v_add_f16_e32 v30, v81, v28
	v_add_f16_e32 v56, v18, v59
	;; [unrolled: 1-line block ×3, first 2 shown]
	v_fmac_f16_e32 v35, v16, v32
	v_fmac_f16_e32 v36, v15, v33
	v_sub_f16_e32 v28, v28, v57
	v_fma_f16 v55, -0.5, v55, v18
	v_add_f16_e32 v15, v19, v21
	v_add_f16_e32 v54, v58, v62
	v_fmamk_f16 v58, v51, 0xbaee, v41
	v_fmac_f16_e32 v41, 0x3aee, v51
	v_fmamk_f16 v51, v53, 0x3aee, v50
	v_fmac_f16_e32 v50, 0xbaee, v53
	v_fma_f16 v53, -0.5, v22, v81
	v_add_f16_e32 v57, v30, v57
	v_add_f16_e32 v18, v38, v39
	v_sub_f16_e32 v22, v60, v61
	v_add_f16_e32 v30, v82, v38
	v_sub_f16_e32 v38, v38, v39
	v_add_f16_e32 v60, v20, v60
	v_fma_f16 v59, -0.5, v59, v20
	v_add_f16_e32 v20, v35, v36
	v_add_f16_e32 v56, v56, v64
	v_fmamk_f16 v64, v28, 0x3aee, v55
	v_fmac_f16_e32 v55, 0xbaee, v28
	v_add_f16_e32 v28, v17, v35
	v_sub_f16_e32 v16, v35, v36
	v_fma_f16 v66, -0.5, v15, v83
	v_fma_f16 v65, -0.5, v18, v82
	v_add_f16_e32 v60, v60, v61
	v_add_f16_e32 v18, v83, v19
	v_sub_f16_e32 v19, v19, v21
	v_fmamk_f16 v61, v38, 0x3aee, v59
	v_fmac_f16_e32 v59, 0xbaee, v38
	v_fma_f16 v38, -0.5, v20, v17
	v_add_f16_e32 v36, v28, v36
	v_lshrrev_b32_e32 v28, 8, v98
	v_fmamk_f16 v71, v16, 0xbaee, v66
	v_fmac_f16_e32 v66, 0x3aee, v16
	v_lshlrev_b64_e32 v[15:16], 2, v[42:43]
	v_fmamk_f16 v77, v19, 0x3aee, v38
	v_fmac_f16_e32 v38, 0xbaee, v19
	v_lshlrev_b64_e32 v[19:20], 2, v[44:45]
	v_fmamk_f16 v62, v29, 0xbaee, v53
	v_fmac_f16_e32 v53, 0x3aee, v29
	v_add_nc_u32_e32 v32, 0x654, v102
	v_mul_u32_u24_e32 v29, 0x32a, v28
	v_add_f16_e32 v70, v18, v21
	v_mad_co_u64_u32 v[17:18], null, s16, v34, 0
	v_add_co_u32 v15, vcc_lo, v0, v15
	s_wait_alu 0xfffd
	v_add_co_ci_u32_e32 v16, vcc_lo, v1, v16, vcc_lo
	v_fmamk_f16 v35, v22, 0xbaee, v65
	v_fmac_f16_e32 v65, 0x3aee, v22
	v_mad_co_u64_u32 v[21:22], null, s16, v32, 0
	v_sub_nc_u32_e32 v29, v97, v29
	v_add_co_u32 v19, vcc_lo, v0, v19
	v_add_f16_e32 v39, v30, v39
	v_pack_b32_f16 v42, v84, v78
	s_delay_alu instid0(VALU_DEP_4) | instskip(NEXT) | instid1(VALU_DEP_4)
	v_mad_u32_u24 v43, 0x97e, v28, v29
	v_mad_co_u64_u32 v[28:29], null, s17, v34, v[18:19]
	v_mov_b32_e32 v18, v22
	s_wait_alu 0xfffd
	v_add_co_ci_u32_e32 v20, vcc_lo, v1, v20, vcc_lo
	v_mad_co_u64_u32 v[29:30], null, s16, v43, 0
	s_delay_alu instid0(VALU_DEP_3)
	v_mad_co_u64_u32 v[32:33], null, s17, v32, v[18:19]
	v_mov_b32_e32 v18, v28
	v_pack_b32_f16 v22, v48, v74
	v_add_nc_u32_e32 v33, 0xf3, v31
	s_clause 0x2
	global_store_b32 v[46:47], v40, off
	global_store_b32 v[15:16], v42, off
	;; [unrolled: 1-line block ×3, first 2 shown]
	v_lshlrev_b64_e32 v[16:17], 2, v[17:18]
	v_mov_b32_e32 v15, v30
	v_mul_hi_u32 v28, 0x50e89cc3, v33
	v_mov_b32_e32 v22, v32
	v_add_nc_u32_e32 v32, 0x32a, v43
	v_fma_f16 v72, -0.5, v94, v99
	v_mad_co_u64_u32 v[18:19], null, s17, v43, v[15:16]
	s_delay_alu instid0(VALU_DEP_4)
	v_lshlrev_b64_e32 v[19:20], 2, v[21:22]
	v_add_co_u32 v15, vcc_lo, v0, v16
	v_lshrrev_b32_e32 v34, 8, v28
	s_wait_alu 0xfffd
	v_add_co_ci_u32_e32 v16, vcc_lo, v1, v17, vcc_lo
	v_mov_b32_e32 v30, v18
	v_mad_co_u64_u32 v[17:18], null, s16, v32, 0
	v_add_co_u32 v19, vcc_lo, v0, v19
	v_mul_u32_u24_e32 v44, 0x32a, v34
	s_delay_alu instid0(VALU_DEP_4)
	v_lshlrev_b64_e32 v[21:22], 2, v[29:30]
	v_fmamk_f16 v68, v73, 0xbaee, v37
	v_fmac_f16_e32 v37, 0x3aee, v73
	v_fmamk_f16 v69, v76, 0x3aee, v52
	v_sub_nc_u32_e32 v30, v33, v44
	v_mad_co_u64_u32 v[32:33], null, s17, v32, v[18:19]
	v_add_nc_u32_e32 v43, 0x654, v43
	v_fmac_f16_e32 v52, 0xbaee, v76
	s_delay_alu instid0(VALU_DEP_4)
	v_mad_u32_u24 v44, 0x97e, v34, v30
	v_fmamk_f16 v73, v95, 0xbaee, v72
	v_fmac_f16_e32 v72, 0x3aee, v95
	v_mad_co_u64_u32 v[28:29], null, s16, v43, 0
	v_fmamk_f16 v76, v104, 0x3aee, v75
	v_fmac_f16_e32 v75, 0xbaee, v104
	v_mad_co_u64_u32 v[33:34], null, s16, v44, 0
	s_wait_alu 0xfffd
	v_add_co_ci_u32_e32 v20, vcc_lo, v1, v20, vcc_lo
	v_mov_b32_e32 v18, v29
	v_pack_b32_f16 v40, v75, v72
	v_add_co_u32 v21, vcc_lo, v0, v21
	v_pack_b32_f16 v42, v76, v73
	s_delay_alu instid0(VALU_DEP_4)
	v_mad_co_u64_u32 v[29:30], null, s17, v43, v[18:19]
	v_mov_b32_e32 v18, v32
	v_add_nc_u32_e32 v30, 0x144, v31
	s_wait_alu 0xfffd
	v_add_co_ci_u32_e32 v22, vcc_lo, v1, v22, vcc_lo
	v_pack_b32_f16 v45, v67, v63
	global_store_b32 v[15:16], v40, off
	v_lshlrev_b64_e32 v[16:17], 2, v[17:18]
	v_mov_b32_e32 v15, v34
	s_clause 0x1
	global_store_b32 v[19:20], v42, off
	global_store_b32 v[21:22], v45, off
	v_mul_hi_u32 v21, 0x50e89cc3, v30
	v_add_nc_u32_e32 v32, 0x32a, v44
	v_add_nc_u32_e32 v43, 0x654, v44
	v_mad_co_u64_u32 v[18:19], null, s17, v44, v[15:16]
	v_lshlrev_b64_e32 v[19:20], 2, v[28:29]
	v_add_co_u32 v15, vcc_lo, v0, v16
	v_lshrrev_b32_e32 v40, 8, v21
	s_wait_alu 0xfffd
	v_add_co_ci_u32_e32 v16, vcc_lo, v1, v17, vcc_lo
	v_mov_b32_e32 v34, v18
	v_mad_co_u64_u32 v[17:18], null, s16, v32, 0
	v_mul_u32_u24_e32 v44, 0x32a, v40
	v_mad_co_u64_u32 v[28:29], null, s16, v43, 0
	v_add_co_u32 v19, vcc_lo, v0, v19
	s_delay_alu instid0(VALU_DEP_3)
	v_sub_nc_u32_e32 v30, v30, v44
	v_lshlrev_b64_e32 v[21:22], 2, v[33:34]
	s_wait_alu 0xfffd
	v_add_co_ci_u32_e32 v20, vcc_lo, v1, v20, vcc_lo
	v_mad_co_u64_u32 v[32:33], null, s17, v32, v[18:19]
	v_mad_u32_u24 v40, 0x97e, v40, v30
	v_mov_b32_e32 v18, v29
	v_add_co_u32 v21, vcc_lo, v0, v21
	v_pack_b32_f16 v37, v52, v37
	s_delay_alu instid0(VALU_DEP_4) | instskip(NEXT) | instid1(VALU_DEP_4)
	v_mad_co_u64_u32 v[33:34], null, s16, v40, 0
	v_mad_co_u64_u32 v[29:30], null, s17, v43, v[18:19]
	v_pack_b32_f16 v42, v69, v68
	v_mov_b32_e32 v18, v32
	v_add_nc_u32_e32 v30, 0x195, v31
	s_wait_alu 0xfffd
	v_add_co_ci_u32_e32 v22, vcc_lo, v1, v22, vcc_lo
	v_pack_b32_f16 v36, v36, v70
	s_clause 0x2
	global_store_b32 v[15:16], v37, off
	global_store_b32 v[19:20], v42, off
	;; [unrolled: 1-line block ×3, first 2 shown]
	v_lshlrev_b64_e32 v[16:17], 2, v[17:18]
	v_mul_hi_u32 v21, 0x50e89cc3, v30
	v_dual_mov_b32 v15, v34 :: v_dual_add_nc_u32 v32, 0x32a, v40
	v_pack_b32_f16 v36, v38, v66
	v_pack_b32_f16 v38, v77, v71
	;; [unrolled: 1-line block ×3, first 2 shown]
	s_delay_alu instid0(VALU_DEP_4) | instskip(SKIP_4) | instid1(VALU_DEP_4)
	v_mad_co_u64_u32 v[18:19], null, s17, v40, v[15:16]
	v_lshrrev_b32_e32 v37, 8, v21
	v_add_nc_u32_e32 v40, 0x654, v40
	v_lshlrev_b64_e32 v[19:20], 2, v[28:29]
	v_add_co_u32 v15, vcc_lo, v0, v16
	v_mul_u32_u24_e32 v42, 0x32a, v37
	s_wait_alu 0xfffd
	v_add_co_ci_u32_e32 v16, vcc_lo, v1, v17, vcc_lo
	v_mov_b32_e32 v34, v18
	v_mad_co_u64_u32 v[17:18], null, s16, v32, 0
	v_mad_co_u64_u32 v[28:29], null, s16, v40, 0
	v_add_co_u32 v19, vcc_lo, v0, v19
	v_sub_nc_u32_e32 v30, v30, v42
	v_lshlrev_b64_e32 v[21:22], 2, v[33:34]
	s_wait_alu 0xfffd
	v_add_co_ci_u32_e32 v20, vcc_lo, v1, v20, vcc_lo
	v_mad_co_u64_u32 v[32:33], null, s17, v32, v[18:19]
	v_mad_u32_u24 v37, 0x97e, v37, v30
	v_mov_b32_e32 v18, v29
	s_clause 0x1
	global_store_b32 v[15:16], v36, off
	global_store_b32 v[19:20], v38, off
	v_add_co_u32 v21, vcc_lo, v0, v21
	v_mad_co_u64_u32 v[33:34], null, s16, v37, 0
	v_mad_co_u64_u32 v[29:30], null, s17, v40, v[18:19]
	v_add_nc_u32_e32 v30, 0x1e6, v31
	v_mov_b32_e32 v18, v32
	v_add_nc_u32_e32 v36, 0x32a, v37
	s_wait_alu 0xfffd
	v_add_co_ci_u32_e32 v22, vcc_lo, v1, v22, vcc_lo
	v_mul_hi_u32 v20, 0x50e89cc3, v30
	v_lshlrev_b64_e32 v[16:17], 2, v[17:18]
	v_mov_b32_e32 v15, v34
	global_store_b32 v[21:22], v39, off
	v_pack_b32_f16 v38, v59, v65
	v_pack_b32_f16 v39, v61, v35
	;; [unrolled: 1-line block ×3, first 2 shown]
	v_mad_co_u64_u32 v[18:19], null, s17, v37, v[15:16]
	v_lshrrev_b32_e32 v32, 8, v20
	v_lshlrev_b64_e32 v[19:20], 2, v[28:29]
	v_add_co_u32 v15, vcc_lo, v0, v16
	v_add_nc_u32_e32 v37, 0x654, v37
	s_delay_alu instid0(VALU_DEP_4)
	v_mul_u32_u24_e32 v28, 0x32a, v32
	s_wait_alu 0xfffd
	v_add_co_ci_u32_e32 v16, vcc_lo, v1, v17, vcc_lo
	v_mov_b32_e32 v34, v18
	v_mad_co_u64_u32 v[17:18], null, s16, v36, 0
	v_mad_co_u64_u32 v[21:22], null, s16, v37, 0
	v_sub_nc_u32_e32 v30, v30, v28
	v_add_co_u32 v19, vcc_lo, v0, v19
	v_lshlrev_b64_e32 v[28:29], 2, v[33:34]
	s_wait_alu 0xfffd
	v_add_co_ci_u32_e32 v20, vcc_lo, v1, v20, vcc_lo
	v_mad_u32_u24 v30, 0x97e, v32, v30
	v_mad_co_u64_u32 v[32:33], null, s17, v36, v[18:19]
	v_mov_b32_e32 v18, v22
	v_add_co_u32 v28, vcc_lo, v0, v28
	s_delay_alu instid0(VALU_DEP_4) | instskip(NEXT) | instid1(VALU_DEP_3)
	v_mad_co_u64_u32 v[33:34], null, s16, v30, 0
	v_mad_co_u64_u32 v[35:36], null, s17, v37, v[18:19]
	v_mov_b32_e32 v18, v32
	s_clause 0x1
	global_store_b32 v[15:16], v38, off
	global_store_b32 v[19:20], v39, off
	s_wait_alu 0xfffd
	v_add_co_ci_u32_e32 v29, vcc_lo, v1, v29, vcc_lo
	v_pack_b32_f16 v22, v56, v57
	v_lshlrev_b64_e32 v[16:17], 2, v[17:18]
	v_dual_mov_b32 v15, v34 :: v_dual_add_nc_u32 v36, 0x237, v31
	v_add_nc_u32_e32 v32, 0x32a, v30
	global_store_b32 v[28:29], v22, off
	v_mov_b32_e32 v22, v35
	v_mad_co_u64_u32 v[18:19], null, s17, v30, v[15:16]
	v_add_nc_u32_e32 v30, 0x654, v30
	v_mul_hi_u32 v28, 0x50e89cc3, v36
	s_delay_alu instid0(VALU_DEP_4)
	v_lshlrev_b64_e32 v[19:20], 2, v[21:22]
	v_add_co_u32 v15, vcc_lo, v0, v16
	s_wait_alu 0xfffd
	v_add_co_ci_u32_e32 v16, vcc_lo, v1, v17, vcc_lo
	v_mov_b32_e32 v34, v18
	v_mad_co_u64_u32 v[17:18], null, s16, v32, 0
	v_mad_co_u64_u32 v[21:22], null, s16, v30, 0
	v_add_co_u32 v19, vcc_lo, v0, v19
	v_lshrrev_b32_e32 v38, 8, v28
	v_lshlrev_b64_e32 v[28:29], 2, v[33:34]
	v_pack_b32_f16 v35, v55, v53
	s_delay_alu instid0(VALU_DEP_4)
	v_mad_co_u64_u32 v[32:33], null, s17, v32, v[18:19]
	v_mov_b32_e32 v18, v22
	v_mul_u32_u24_e32 v22, 0x32a, v38
	s_wait_alu 0xfffd
	v_add_co_ci_u32_e32 v20, vcc_lo, v1, v20, vcc_lo
	v_pack_b32_f16 v37, v64, v62
	v_mad_co_u64_u32 v[33:34], null, s17, v30, v[18:19]
	v_sub_nc_u32_e32 v22, v36, v22
	v_mov_b32_e32 v18, v32
	v_add_co_u32 v28, vcc_lo, v0, v28
	s_clause 0x1
	global_store_b32 v[15:16], v35, off
	global_store_b32 v[19:20], v37, off
	v_mad_u32_u24 v32, 0x97e, v38, v22
	v_mov_b32_e32 v22, v33
	v_lshlrev_b64_e32 v[15:16], 2, v[17:18]
	s_wait_alu 0xfffd
	v_add_co_ci_u32_e32 v29, vcc_lo, v1, v29, vcc_lo
	v_add_nc_u32_e32 v33, 0x32a, v32
	v_pack_b32_f16 v30, v54, v49
	v_add_nc_u32_e32 v35, 0x288, v31
	v_lshlrev_b64_e32 v[19:20], 2, v[21:22]
	v_mad_co_u64_u32 v[17:18], null, s16, v32, 0
	v_add_co_u32 v15, vcc_lo, v0, v15
	v_mad_co_u64_u32 v[21:22], null, s16, v33, 0
	global_store_b32 v[28:29], v30, off
	v_mul_hi_u32 v30, 0x50e89cc3, v35
	s_wait_alu 0xfffd
	v_add_co_ci_u32_e32 v16, vcc_lo, v1, v16, vcc_lo
	v_add_co_u32 v19, vcc_lo, v0, v19
	v_add_nc_u32_e32 v36, 0x654, v32
	v_pack_b32_f16 v34, v50, v41
	s_wait_alu 0xfffd
	v_add_co_ci_u32_e32 v20, vcc_lo, v1, v20, vcc_lo
	v_mad_co_u64_u32 v[28:29], null, s17, v32, v[18:19]
	v_mov_b32_e32 v18, v22
	v_lshrrev_b32_e32 v37, 8, v30
	v_mad_co_u64_u32 v[29:30], null, s16, v36, 0
	v_pack_b32_f16 v22, v51, v58
	s_delay_alu instid0(VALU_DEP_4) | instskip(NEXT) | instid1(VALU_DEP_4)
	v_mad_co_u64_u32 v[32:33], null, s17, v33, v[18:19]
	v_mul_u32_u24_e32 v33, 0x32a, v37
	v_mov_b32_e32 v18, v28
	s_clause 0x1
	global_store_b32 v[15:16], v34, off
	global_store_b32 v[19:20], v22, off
	v_mov_b32_e32 v15, v30
	v_add_nc_u32_e32 v31, 0x2d9, v31
	v_sub_nc_u32_e32 v20, v35, v33
	v_lshlrev_b64_e32 v[16:17], 2, v[17:18]
	v_mov_b32_e32 v22, v32
	v_pack_b32_f16 v32, v27, v26
	v_pack_b32_f16 v23, v24, v23
	v_mad_u32_u24 v28, 0x97e, v37, v20
	v_pack_b32_f16 v2, v3, v2
	v_mad_co_u64_u32 v[18:19], null, s17, v36, v[15:16]
	v_lshlrev_b64_e32 v[19:20], 2, v[21:22]
	s_delay_alu instid0(VALU_DEP_4) | instskip(SKIP_3) | instid1(VALU_DEP_4)
	v_mad_co_u64_u32 v[21:22], null, s16, v28, 0
	v_add_co_u32 v15, vcc_lo, v0, v16
	s_wait_alu 0xfffd
	v_add_co_ci_u32_e32 v16, vcc_lo, v1, v17, vcc_lo
	v_add_co_u32 v17, vcc_lo, v0, v19
	s_delay_alu instid0(VALU_DEP_4)
	v_mov_b32_e32 v19, v22
	v_mul_hi_u32 v22, 0x50e89cc3, v31
	v_mov_b32_e32 v30, v18
	s_wait_alu 0xfffd
	v_add_co_ci_u32_e32 v18, vcc_lo, v1, v20, vcc_lo
	v_mad_co_u64_u32 v[19:20], null, s17, v28, v[19:20]
	s_delay_alu instid0(VALU_DEP_3)
	v_lshlrev_b64_e32 v[26:27], 2, v[29:30]
	global_store_b32 v[15:16], v32, off
	v_lshrrev_b32_e32 v20, 8, v22
	global_store_b32 v[17:18], v14, off
	v_add_nc_u32_e32 v24, 0x654, v28
	v_pack_b32_f16 v3, v7, v6
	v_mov_b32_e32 v22, v19
	v_mul_u32_u24_e32 v16, 0x32a, v20
	v_add_co_u32 v25, vcc_lo, v0, v26
	s_wait_alu 0xfffd
	v_add_co_ci_u32_e32 v26, vcc_lo, v1, v27, vcc_lo
	v_lshlrev_b64_e32 v[14:15], 2, v[21:22]
	v_sub_nc_u32_e32 v21, v31, v16
	v_mad_co_u64_u32 v[18:19], null, s16, v24, 0
	global_store_b32 v[25:26], v23, off
	v_add_nc_u32_e32 v23, 0x32a, v28
	v_mad_u32_u24 v25, 0x97e, v20, v21
	v_pack_b32_f16 v26, v13, v12
	v_add_co_u32 v14, vcc_lo, v0, v14
	s_delay_alu instid0(VALU_DEP_4) | instskip(NEXT) | instid1(VALU_DEP_4)
	v_mad_co_u64_u32 v[16:17], null, s16, v23, 0
	v_add_nc_u32_e32 v27, 0x32a, v25
	v_mad_co_u64_u32 v[20:21], null, s16, v25, 0
	s_wait_alu 0xfffd
	v_add_co_ci_u32_e32 v15, vcc_lo, v1, v15, vcc_lo
	s_delay_alu instid0(VALU_DEP_4)
	v_mad_co_u64_u32 v[22:23], null, s17, v23, v[17:18]
	global_store_b32 v[14:15], v26, off
	v_mad_co_u64_u32 v[12:13], null, s17, v24, v[19:20]
	v_mov_b32_e32 v13, v21
	v_mad_co_u64_u32 v[23:24], null, s16, v27, 0
	v_mov_b32_e32 v17, v22
	s_delay_alu instid0(VALU_DEP_3) | instskip(SKIP_1) | instid1(VALU_DEP_3)
	v_mad_co_u64_u32 v[21:22], null, s17, v25, v[13:14]
	v_add_nc_u32_e32 v22, 0x654, v25
	v_lshlrev_b64_e32 v[13:14], 2, v[16:17]
	v_dual_mov_b32 v19, v12 :: v_dual_mov_b32 v12, v24
	s_delay_alu instid0(VALU_DEP_3) | instskip(NEXT) | instid1(VALU_DEP_2)
	v_mad_co_u64_u32 v[15:16], null, s16, v22, 0
	v_mad_co_u64_u32 v[24:25], null, s17, v27, v[12:13]
	v_add_co_u32 v12, vcc_lo, v0, v13
	s_wait_alu 0xfffd
	v_add_co_ci_u32_e32 v13, vcc_lo, v1, v14, vcc_lo
	s_delay_alu instid0(VALU_DEP_4) | instskip(SKIP_3) | instid1(VALU_DEP_4)
	v_mov_b32_e32 v14, v16
	v_pack_b32_f16 v25, v9, v8
	v_lshlrev_b64_e32 v[8:9], 2, v[18:19]
	v_lshlrev_b64_e32 v[17:18], 2, v[20:21]
	v_mad_co_u64_u32 v[19:20], null, s17, v22, v[14:15]
	v_pack_b32_f16 v14, v11, v10
	s_delay_alu instid0(VALU_DEP_4)
	v_add_co_u32 v8, vcc_lo, v0, v8
	v_lshlrev_b64_e32 v[10:11], 2, v[23:24]
	s_wait_alu 0xfffd
	v_add_co_ci_u32_e32 v9, vcc_lo, v1, v9, vcc_lo
	v_mov_b32_e32 v16, v19
	v_add_co_u32 v17, vcc_lo, v0, v17
	v_pack_b32_f16 v19, v5, v4
	s_wait_alu 0xfffd
	v_add_co_ci_u32_e32 v18, vcc_lo, v1, v18, vcc_lo
	v_lshlrev_b64_e32 v[4:5], 2, v[15:16]
	v_add_co_u32 v10, vcc_lo, v0, v10
	s_wait_alu 0xfffd
	v_add_co_ci_u32_e32 v11, vcc_lo, v1, v11, vcc_lo
	s_delay_alu instid0(VALU_DEP_3)
	v_add_co_u32 v0, vcc_lo, v0, v4
	s_wait_alu 0xfffd
	v_add_co_ci_u32_e32 v1, vcc_lo, v1, v5, vcc_lo
	s_clause 0x4
	global_store_b32 v[12:13], v25, off
	global_store_b32 v[8:9], v14, off
	;; [unrolled: 1-line block ×5, first 2 shown]
.LBB0_15:
	s_nop 0
	s_sendmsg sendmsg(MSG_DEALLOC_VGPRS)
	s_endpgm
	.section	.rodata,"a",@progbits
	.p2align	6, 0x0
	.amdhsa_kernel fft_rtc_back_len2430_factors_10_3_3_3_3_3_wgs_81_tpt_81_halfLds_half_op_CI_CI_sbrr_dirReg
		.amdhsa_group_segment_fixed_size 0
		.amdhsa_private_segment_fixed_size 0
		.amdhsa_kernarg_size 104
		.amdhsa_user_sgpr_count 2
		.amdhsa_user_sgpr_dispatch_ptr 0
		.amdhsa_user_sgpr_queue_ptr 0
		.amdhsa_user_sgpr_kernarg_segment_ptr 1
		.amdhsa_user_sgpr_dispatch_id 0
		.amdhsa_user_sgpr_private_segment_size 0
		.amdhsa_wavefront_size32 1
		.amdhsa_uses_dynamic_stack 0
		.amdhsa_enable_private_segment 0
		.amdhsa_system_sgpr_workgroup_id_x 1
		.amdhsa_system_sgpr_workgroup_id_y 0
		.amdhsa_system_sgpr_workgroup_id_z 0
		.amdhsa_system_sgpr_workgroup_info 0
		.amdhsa_system_vgpr_workitem_id 0
		.amdhsa_next_free_vgpr 134
		.amdhsa_next_free_sgpr 43
		.amdhsa_reserve_vcc 1
		.amdhsa_float_round_mode_32 0
		.amdhsa_float_round_mode_16_64 0
		.amdhsa_float_denorm_mode_32 3
		.amdhsa_float_denorm_mode_16_64 3
		.amdhsa_fp16_overflow 0
		.amdhsa_workgroup_processor_mode 1
		.amdhsa_memory_ordered 1
		.amdhsa_forward_progress 0
		.amdhsa_round_robin_scheduling 0
		.amdhsa_exception_fp_ieee_invalid_op 0
		.amdhsa_exception_fp_denorm_src 0
		.amdhsa_exception_fp_ieee_div_zero 0
		.amdhsa_exception_fp_ieee_overflow 0
		.amdhsa_exception_fp_ieee_underflow 0
		.amdhsa_exception_fp_ieee_inexact 0
		.amdhsa_exception_int_div_zero 0
	.end_amdhsa_kernel
	.text
.Lfunc_end0:
	.size	fft_rtc_back_len2430_factors_10_3_3_3_3_3_wgs_81_tpt_81_halfLds_half_op_CI_CI_sbrr_dirReg, .Lfunc_end0-fft_rtc_back_len2430_factors_10_3_3_3_3_3_wgs_81_tpt_81_halfLds_half_op_CI_CI_sbrr_dirReg
                                        ; -- End function
	.section	.AMDGPU.csdata,"",@progbits
; Kernel info:
; codeLenInByte = 24808
; NumSgprs: 45
; NumVgprs: 134
; ScratchSize: 0
; MemoryBound: 0
; FloatMode: 240
; IeeeMode: 1
; LDSByteSize: 0 bytes/workgroup (compile time only)
; SGPRBlocks: 5
; VGPRBlocks: 16
; NumSGPRsForWavesPerEU: 45
; NumVGPRsForWavesPerEU: 134
; Occupancy: 10
; WaveLimiterHint : 1
; COMPUTE_PGM_RSRC2:SCRATCH_EN: 0
; COMPUTE_PGM_RSRC2:USER_SGPR: 2
; COMPUTE_PGM_RSRC2:TRAP_HANDLER: 0
; COMPUTE_PGM_RSRC2:TGID_X_EN: 1
; COMPUTE_PGM_RSRC2:TGID_Y_EN: 0
; COMPUTE_PGM_RSRC2:TGID_Z_EN: 0
; COMPUTE_PGM_RSRC2:TIDIG_COMP_CNT: 0
	.text
	.p2alignl 7, 3214868480
	.fill 96, 4, 3214868480
	.type	__hip_cuid_58d858e15b76af7f,@object ; @__hip_cuid_58d858e15b76af7f
	.section	.bss,"aw",@nobits
	.globl	__hip_cuid_58d858e15b76af7f
__hip_cuid_58d858e15b76af7f:
	.byte	0                               ; 0x0
	.size	__hip_cuid_58d858e15b76af7f, 1

	.ident	"AMD clang version 19.0.0git (https://github.com/RadeonOpenCompute/llvm-project roc-6.4.0 25133 c7fe45cf4b819c5991fe208aaa96edf142730f1d)"
	.section	".note.GNU-stack","",@progbits
	.addrsig
	.addrsig_sym __hip_cuid_58d858e15b76af7f
	.amdgpu_metadata
---
amdhsa.kernels:
  - .args:
      - .actual_access:  read_only
        .address_space:  global
        .offset:         0
        .size:           8
        .value_kind:     global_buffer
      - .offset:         8
        .size:           8
        .value_kind:     by_value
      - .actual_access:  read_only
        .address_space:  global
        .offset:         16
        .size:           8
        .value_kind:     global_buffer
      - .actual_access:  read_only
        .address_space:  global
        .offset:         24
        .size:           8
        .value_kind:     global_buffer
      - .actual_access:  read_only
        .address_space:  global
        .offset:         32
        .size:           8
        .value_kind:     global_buffer
      - .offset:         40
        .size:           8
        .value_kind:     by_value
      - .actual_access:  read_only
        .address_space:  global
        .offset:         48
        .size:           8
        .value_kind:     global_buffer
      - .actual_access:  read_only
        .address_space:  global
        .offset:         56
        .size:           8
        .value_kind:     global_buffer
      - .offset:         64
        .size:           4
        .value_kind:     by_value
      - .actual_access:  read_only
        .address_space:  global
        .offset:         72
        .size:           8
        .value_kind:     global_buffer
      - .actual_access:  read_only
        .address_space:  global
        .offset:         80
        .size:           8
        .value_kind:     global_buffer
      - .actual_access:  read_only
        .address_space:  global
        .offset:         88
        .size:           8
        .value_kind:     global_buffer
      - .actual_access:  write_only
        .address_space:  global
        .offset:         96
        .size:           8
        .value_kind:     global_buffer
    .group_segment_fixed_size: 0
    .kernarg_segment_align: 8
    .kernarg_segment_size: 104
    .language:       OpenCL C
    .language_version:
      - 2
      - 0
    .max_flat_workgroup_size: 81
    .name:           fft_rtc_back_len2430_factors_10_3_3_3_3_3_wgs_81_tpt_81_halfLds_half_op_CI_CI_sbrr_dirReg
    .private_segment_fixed_size: 0
    .sgpr_count:     45
    .sgpr_spill_count: 0
    .symbol:         fft_rtc_back_len2430_factors_10_3_3_3_3_3_wgs_81_tpt_81_halfLds_half_op_CI_CI_sbrr_dirReg.kd
    .uniform_work_group_size: 1
    .uses_dynamic_stack: false
    .vgpr_count:     134
    .vgpr_spill_count: 0
    .wavefront_size: 32
    .workgroup_processor_mode: 1
amdhsa.target:   amdgcn-amd-amdhsa--gfx1201
amdhsa.version:
  - 1
  - 2
...

	.end_amdgpu_metadata
